;; amdgpu-corpus repo=ROCm/rocFFT kind=compiled arch=gfx1030 opt=O3
	.text
	.amdgcn_target "amdgcn-amd-amdhsa--gfx1030"
	.amdhsa_code_object_version 6
	.protected	fft_rtc_fwd_len1008_factors_2_2_2_2_3_3_7_wgs_56_tpt_56_halfLds_dp_op_CI_CI_sbrr_dirReg ; -- Begin function fft_rtc_fwd_len1008_factors_2_2_2_2_3_3_7_wgs_56_tpt_56_halfLds_dp_op_CI_CI_sbrr_dirReg
	.globl	fft_rtc_fwd_len1008_factors_2_2_2_2_3_3_7_wgs_56_tpt_56_halfLds_dp_op_CI_CI_sbrr_dirReg
	.p2align	8
	.type	fft_rtc_fwd_len1008_factors_2_2_2_2_3_3_7_wgs_56_tpt_56_halfLds_dp_op_CI_CI_sbrr_dirReg,@function
fft_rtc_fwd_len1008_factors_2_2_2_2_3_3_7_wgs_56_tpt_56_halfLds_dp_op_CI_CI_sbrr_dirReg: ; @fft_rtc_fwd_len1008_factors_2_2_2_2_3_3_7_wgs_56_tpt_56_halfLds_dp_op_CI_CI_sbrr_dirReg
; %bb.0:
	s_clause 0x2
	s_load_dwordx4 s[16:19], s[4:5], 0x18
	s_load_dwordx4 s[8:11], s[4:5], 0x0
	;; [unrolled: 1-line block ×3, first 2 shown]
	v_mul_u32_u24_e32 v2, 0x493, v0
	v_mov_b32_e32 v1, 0
	v_mov_b32_e32 v4, 0
	;; [unrolled: 1-line block ×3, first 2 shown]
	s_waitcnt lgkmcnt(0)
	s_load_dwordx2 s[20:21], s[16:17], 0x0
	s_load_dwordx2 s[2:3], s[18:19], 0x0
	v_cmp_lt_u64_e64 s0, s[10:11], 2
	v_add_nc_u32_sdwa v6, s6, v2 dst_sel:DWORD dst_unused:UNUSED_PAD src0_sel:DWORD src1_sel:WORD_1
	v_mov_b32_e32 v7, v1
	s_and_b32 vcc_lo, exec_lo, s0
	s_cbranch_vccnz .LBB0_8
; %bb.1:
	s_load_dwordx2 s[0:1], s[4:5], 0x10
	v_mov_b32_e32 v4, 0
	v_mov_b32_e32 v5, 0
	s_add_u32 s6, s18, 8
	s_addc_u32 s7, s19, 0
	s_add_u32 s22, s16, 8
	s_addc_u32 s23, s17, 0
	v_mov_b32_e32 v97, v5
	v_mov_b32_e32 v96, v4
	s_mov_b64 s[26:27], 1
	s_waitcnt lgkmcnt(0)
	s_add_u32 s24, s0, 8
	s_addc_u32 s25, s1, 0
.LBB0_2:                                ; =>This Inner Loop Header: Depth=1
	s_load_dwordx2 s[28:29], s[24:25], 0x0
                                        ; implicit-def: $vgpr98_vgpr99
	s_mov_b32 s0, exec_lo
	s_waitcnt lgkmcnt(0)
	v_or_b32_e32 v2, s29, v7
	v_cmpx_ne_u64_e32 0, v[1:2]
	s_xor_b32 s1, exec_lo, s0
	s_cbranch_execz .LBB0_4
; %bb.3:                                ;   in Loop: Header=BB0_2 Depth=1
	v_cvt_f32_u32_e32 v2, s28
	v_cvt_f32_u32_e32 v3, s29
	s_sub_u32 s0, 0, s28
	s_subb_u32 s30, 0, s29
	v_fmac_f32_e32 v2, 0x4f800000, v3
	v_rcp_f32_e32 v2, v2
	v_mul_f32_e32 v2, 0x5f7ffffc, v2
	v_mul_f32_e32 v3, 0x2f800000, v2
	v_trunc_f32_e32 v3, v3
	v_fmac_f32_e32 v2, 0xcf800000, v3
	v_cvt_u32_f32_e32 v3, v3
	v_cvt_u32_f32_e32 v2, v2
	v_mul_lo_u32 v8, s0, v3
	v_mul_hi_u32 v9, s0, v2
	v_mul_lo_u32 v10, s30, v2
	v_add_nc_u32_e32 v8, v9, v8
	v_mul_lo_u32 v9, s0, v2
	v_add_nc_u32_e32 v8, v8, v10
	v_mul_hi_u32 v10, v2, v9
	v_mul_lo_u32 v11, v2, v8
	v_mul_hi_u32 v12, v2, v8
	v_mul_hi_u32 v13, v3, v9
	v_mul_lo_u32 v9, v3, v9
	v_mul_hi_u32 v14, v3, v8
	v_mul_lo_u32 v8, v3, v8
	v_add_co_u32 v10, vcc_lo, v10, v11
	v_add_co_ci_u32_e32 v11, vcc_lo, 0, v12, vcc_lo
	v_add_co_u32 v9, vcc_lo, v10, v9
	v_add_co_ci_u32_e32 v9, vcc_lo, v11, v13, vcc_lo
	v_add_co_ci_u32_e32 v10, vcc_lo, 0, v14, vcc_lo
	v_add_co_u32 v8, vcc_lo, v9, v8
	v_add_co_ci_u32_e32 v9, vcc_lo, 0, v10, vcc_lo
	v_add_co_u32 v2, vcc_lo, v2, v8
	v_add_co_ci_u32_e32 v3, vcc_lo, v3, v9, vcc_lo
	v_mul_hi_u32 v8, s0, v2
	v_mul_lo_u32 v10, s30, v2
	v_mul_lo_u32 v9, s0, v3
	v_add_nc_u32_e32 v8, v8, v9
	v_mul_lo_u32 v9, s0, v2
	v_add_nc_u32_e32 v8, v8, v10
	v_mul_hi_u32 v10, v2, v9
	v_mul_lo_u32 v11, v2, v8
	v_mul_hi_u32 v12, v2, v8
	v_mul_hi_u32 v13, v3, v9
	v_mul_lo_u32 v9, v3, v9
	v_mul_hi_u32 v14, v3, v8
	v_mul_lo_u32 v8, v3, v8
	v_add_co_u32 v10, vcc_lo, v10, v11
	v_add_co_ci_u32_e32 v11, vcc_lo, 0, v12, vcc_lo
	v_add_co_u32 v9, vcc_lo, v10, v9
	v_add_co_ci_u32_e32 v9, vcc_lo, v11, v13, vcc_lo
	v_add_co_ci_u32_e32 v10, vcc_lo, 0, v14, vcc_lo
	v_add_co_u32 v8, vcc_lo, v9, v8
	v_add_co_ci_u32_e32 v9, vcc_lo, 0, v10, vcc_lo
	v_add_co_u32 v8, vcc_lo, v2, v8
	v_add_co_ci_u32_e32 v10, vcc_lo, v3, v9, vcc_lo
	v_mul_hi_u32 v12, v6, v8
	v_mad_u64_u32 v[8:9], null, v7, v8, 0
	v_mad_u64_u32 v[2:3], null, v6, v10, 0
	v_mad_u64_u32 v[10:11], null, v7, v10, 0
	v_add_co_u32 v2, vcc_lo, v12, v2
	v_add_co_ci_u32_e32 v3, vcc_lo, 0, v3, vcc_lo
	v_add_co_u32 v2, vcc_lo, v2, v8
	v_add_co_ci_u32_e32 v2, vcc_lo, v3, v9, vcc_lo
	v_add_co_ci_u32_e32 v3, vcc_lo, 0, v11, vcc_lo
	v_add_co_u32 v8, vcc_lo, v2, v10
	v_add_co_ci_u32_e32 v9, vcc_lo, 0, v3, vcc_lo
	v_mul_lo_u32 v10, s29, v8
	v_mad_u64_u32 v[2:3], null, s28, v8, 0
	v_mul_lo_u32 v11, s28, v9
	v_sub_co_u32 v2, vcc_lo, v6, v2
	v_add3_u32 v3, v3, v11, v10
	v_sub_nc_u32_e32 v10, v7, v3
	v_subrev_co_ci_u32_e64 v10, s0, s29, v10, vcc_lo
	v_add_co_u32 v11, s0, v8, 2
	v_add_co_ci_u32_e64 v12, s0, 0, v9, s0
	v_sub_co_u32 v13, s0, v2, s28
	v_sub_co_ci_u32_e32 v3, vcc_lo, v7, v3, vcc_lo
	v_subrev_co_ci_u32_e64 v10, s0, 0, v10, s0
	v_cmp_le_u32_e32 vcc_lo, s28, v13
	v_cmp_eq_u32_e64 s0, s29, v3
	v_cndmask_b32_e64 v13, 0, -1, vcc_lo
	v_cmp_le_u32_e32 vcc_lo, s29, v10
	v_cndmask_b32_e64 v14, 0, -1, vcc_lo
	v_cmp_le_u32_e32 vcc_lo, s28, v2
	;; [unrolled: 2-line block ×3, first 2 shown]
	v_cndmask_b32_e64 v15, 0, -1, vcc_lo
	v_cmp_eq_u32_e32 vcc_lo, s29, v10
	v_cndmask_b32_e64 v2, v15, v2, s0
	v_cndmask_b32_e32 v10, v14, v13, vcc_lo
	v_add_co_u32 v13, vcc_lo, v8, 1
	v_add_co_ci_u32_e32 v14, vcc_lo, 0, v9, vcc_lo
	v_cmp_ne_u32_e32 vcc_lo, 0, v10
	v_cndmask_b32_e32 v3, v14, v12, vcc_lo
	v_cndmask_b32_e32 v10, v13, v11, vcc_lo
	v_cmp_ne_u32_e32 vcc_lo, 0, v2
	v_cndmask_b32_e32 v99, v9, v3, vcc_lo
	v_cndmask_b32_e32 v98, v8, v10, vcc_lo
.LBB0_4:                                ;   in Loop: Header=BB0_2 Depth=1
	s_andn2_saveexec_b32 s0, s1
	s_cbranch_execz .LBB0_6
; %bb.5:                                ;   in Loop: Header=BB0_2 Depth=1
	v_cvt_f32_u32_e32 v2, s28
	s_sub_i32 s1, 0, s28
	v_mov_b32_e32 v99, v1
	v_rcp_iflag_f32_e32 v2, v2
	v_mul_f32_e32 v2, 0x4f7ffffe, v2
	v_cvt_u32_f32_e32 v2, v2
	v_mul_lo_u32 v3, s1, v2
	v_mul_hi_u32 v3, v2, v3
	v_add_nc_u32_e32 v2, v2, v3
	v_mul_hi_u32 v2, v6, v2
	v_mul_lo_u32 v3, v2, s28
	v_add_nc_u32_e32 v8, 1, v2
	v_sub_nc_u32_e32 v3, v6, v3
	v_subrev_nc_u32_e32 v9, s28, v3
	v_cmp_le_u32_e32 vcc_lo, s28, v3
	v_cndmask_b32_e32 v3, v3, v9, vcc_lo
	v_cndmask_b32_e32 v2, v2, v8, vcc_lo
	v_cmp_le_u32_e32 vcc_lo, s28, v3
	v_add_nc_u32_e32 v8, 1, v2
	v_cndmask_b32_e32 v98, v2, v8, vcc_lo
.LBB0_6:                                ;   in Loop: Header=BB0_2 Depth=1
	s_or_b32 exec_lo, exec_lo, s0
	v_mul_lo_u32 v8, v99, s28
	v_mul_lo_u32 v9, v98, s29
	s_load_dwordx2 s[0:1], s[22:23], 0x0
	v_mad_u64_u32 v[2:3], null, v98, s28, 0
	s_load_dwordx2 s[28:29], s[6:7], 0x0
	s_add_u32 s26, s26, 1
	s_addc_u32 s27, s27, 0
	s_add_u32 s6, s6, 8
	s_addc_u32 s7, s7, 0
	s_add_u32 s22, s22, 8
	v_add3_u32 v3, v3, v9, v8
	v_sub_co_u32 v2, vcc_lo, v6, v2
	s_addc_u32 s23, s23, 0
	s_add_u32 s24, s24, 8
	v_sub_co_ci_u32_e32 v3, vcc_lo, v7, v3, vcc_lo
	s_addc_u32 s25, s25, 0
	s_waitcnt lgkmcnt(0)
	v_mul_lo_u32 v6, s0, v3
	v_mul_lo_u32 v7, s1, v2
	v_mad_u64_u32 v[4:5], null, s0, v2, v[4:5]
	v_mul_lo_u32 v3, s28, v3
	v_mul_lo_u32 v8, s29, v2
	v_mad_u64_u32 v[96:97], null, s28, v2, v[96:97]
	v_cmp_ge_u64_e64 s0, s[26:27], s[10:11]
	v_add3_u32 v5, v7, v5, v6
	v_add3_u32 v97, v8, v97, v3
	s_and_b32 vcc_lo, exec_lo, s0
	s_cbranch_vccnz .LBB0_9
; %bb.7:                                ;   in Loop: Header=BB0_2 Depth=1
	v_mov_b32_e32 v6, v98
	v_mov_b32_e32 v7, v99
	s_branch .LBB0_2
.LBB0_8:
	v_mov_b32_e32 v97, v5
	v_mov_b32_e32 v99, v7
	;; [unrolled: 1-line block ×4, first 2 shown]
.LBB0_9:
	s_load_dwordx2 s[0:1], s[4:5], 0x28
	v_mul_hi_u32 v1, 0x4924925, v0
	s_lshl_b64 s[6:7], s[10:11], 3
                                        ; implicit-def: $vgpr158
                                        ; implicit-def: $vgpr84
                                        ; implicit-def: $vgpr159
                                        ; implicit-def: $vgpr72
                                        ; implicit-def: $vgpr73
                                        ; implicit-def: $vgpr74
                                        ; implicit-def: $vgpr75
                                        ; implicit-def: $vgpr76
                                        ; implicit-def: $vgpr77
	s_add_u32 s4, s18, s6
	s_addc_u32 s5, s19, s7
	s_waitcnt lgkmcnt(0)
	v_cmp_gt_u64_e32 vcc_lo, s[0:1], v[98:99]
	v_cmp_le_u64_e64 s0, s[0:1], v[98:99]
	s_and_saveexec_b32 s1, s0
	s_xor_b32 s0, exec_lo, s1
; %bb.10:
	v_mul_u32_u24_e32 v1, 56, v1
                                        ; implicit-def: $vgpr4_vgpr5
	v_sub_nc_u32_e32 v158, v0, v1
                                        ; implicit-def: $vgpr1
                                        ; implicit-def: $vgpr0
	v_add_nc_u32_e32 v84, 56, v158
	v_add_nc_u32_e32 v159, 0x70, v158
	v_add_nc_u32_e32 v72, 0xa8, v158
	v_add_nc_u32_e32 v73, 0xe0, v158
	v_add_nc_u32_e32 v74, 0x118, v158
	v_add_nc_u32_e32 v75, 0x150, v158
	v_add_nc_u32_e32 v76, 0x188, v158
	v_or_b32_e32 v77, 0x1c0, v158
; %bb.11:
	s_or_saveexec_b32 s1, s0
                                        ; implicit-def: $vgpr46_vgpr47
                                        ; implicit-def: $vgpr10_vgpr11
                                        ; implicit-def: $vgpr42_vgpr43
                                        ; implicit-def: $vgpr18_vgpr19
                                        ; implicit-def: $vgpr50_vgpr51
                                        ; implicit-def: $vgpr22_vgpr23
                                        ; implicit-def: $vgpr54_vgpr55
                                        ; implicit-def: $vgpr26_vgpr27
                                        ; implicit-def: $vgpr62_vgpr63
                                        ; implicit-def: $vgpr30_vgpr31
                                        ; implicit-def: $vgpr66_vgpr67
                                        ; implicit-def: $vgpr34_vgpr35
                                        ; implicit-def: $vgpr70_vgpr71
                                        ; implicit-def: $vgpr38_vgpr39
                                        ; implicit-def: $vgpr58_vgpr59
                                        ; implicit-def: $vgpr14_vgpr15
                                        ; implicit-def: $vgpr6_vgpr7
                                        ; implicit-def: $vgpr2_vgpr3
	s_xor_b32 exec_lo, exec_lo, s1
	s_cbranch_execz .LBB0_13
; %bb.12:
	v_mul_u32_u24_e32 v1, 56, v1
	s_add_u32 s6, s16, s6
	s_addc_u32 s7, s17, s7
	v_lshlrev_b64 v[4:5], 4, v[4:5]
	s_load_dwordx2 s[6:7], s[6:7], 0x0
	v_sub_nc_u32_e32 v158, v0, v1
	v_add_nc_u32_e32 v14, 0x1f8, v158
	v_mad_u64_u32 v[0:1], null, s20, v158, 0
	v_add_nc_u32_e32 v84, 56, v158
	v_add_nc_u32_e32 v16, 0x230, v158
	v_mad_u64_u32 v[2:3], null, s20, v14, 0
	v_add_nc_u32_e32 v159, 0x70, v158
	v_mad_u64_u32 v[8:9], null, s20, v84, 0
	v_mad_u64_u32 v[10:11], null, s20, v16, 0
	v_add_nc_u32_e32 v20, 0x268, v158
	v_mad_u64_u32 v[12:13], null, s21, v158, v[1:2]
	s_waitcnt lgkmcnt(0)
	v_mul_lo_u32 v15, s7, v98
	v_mul_lo_u32 v17, s6, v99
	v_mad_u64_u32 v[6:7], null, s6, v98, 0
	v_add_nc_u32_e32 v72, 0xa8, v158
	v_add_nc_u32_e32 v25, 0x2a0, v158
	v_mov_b32_e32 v1, v12
	v_mad_u64_u32 v[12:13], null, s21, v14, v[3:4]
	v_mad_u64_u32 v[13:14], null, s21, v84, v[9:10]
	v_add3_u32 v7, v7, v17, v15
	v_mad_u64_u32 v[14:15], null, s20, v159, 0
	v_lshlrev_b64 v[0:1], 4, v[0:1]
	v_mov_b32_e32 v3, v12
	v_lshlrev_b64 v[6:7], 4, v[6:7]
	v_mad_u64_u32 v[11:12], null, s21, v16, v[11:12]
	v_mad_u64_u32 v[16:17], null, s20, v20, 0
	v_mov_b32_e32 v12, v15
	v_add_co_u32 v6, s0, s12, v6
	v_mov_b32_e32 v9, v13
	v_add_co_ci_u32_e64 v7, s0, s13, v7, s0
	v_mad_u64_u32 v[12:13], null, s21, v159, v[12:13]
	v_mov_b32_e32 v13, v17
	v_add_co_u32 v36, s0, v6, v4
	v_add_co_ci_u32_e64 v37, s0, v7, v5, s0
	v_lshlrev_b64 v[2:3], 4, v[2:3]
	v_mad_u64_u32 v[18:19], null, s20, v72, 0
	v_mov_b32_e32 v15, v12
	v_mad_u64_u32 v[12:13], null, s21, v20, v[13:14]
	v_add_co_u32 v0, s0, v36, v0
	v_lshlrev_b64 v[8:9], 4, v[8:9]
	v_add_co_ci_u32_e64 v1, s0, v37, v1, s0
	v_add_co_u32 v4, s0, v36, v2
	v_lshlrev_b64 v[10:11], 4, v[10:11]
	v_add_co_ci_u32_e64 v5, s0, v37, v3, s0
	v_add_co_u32 v8, s0, v36, v8
	v_lshlrev_b64 v[13:14], 4, v[14:15]
	v_mov_b32_e32 v15, v19
	v_mov_b32_e32 v17, v12
	v_mad_u64_u32 v[20:21], null, s20, v25, 0
	v_add_nc_u32_e32 v73, 0xe0, v158
	v_add_co_ci_u32_e64 v9, s0, v37, v9, s0
	v_add_co_u32 v10, s0, v36, v10
	v_add_co_ci_u32_e64 v11, s0, v37, v11, s0
	v_mad_u64_u32 v[22:23], null, s21, v72, v[15:16]
	v_add_co_u32 v23, s0, v36, v13
	v_lshlrev_b64 v[12:13], 4, v[16:17]
	v_mad_u64_u32 v[15:16], null, s20, v73, 0
	v_add_co_ci_u32_e64 v24, s0, v37, v14, s0
	v_mov_b32_e32 v14, v21
	v_mov_b32_e32 v19, v22
	v_add_nc_u32_e32 v74, 0x118, v158
	v_add_nc_u32_e32 v75, 0x150, v158
	;; [unrolled: 1-line block ×3, first 2 shown]
	v_mad_u64_u32 v[21:22], null, s21, v25, v[14:15]
	v_add_nc_u32_e32 v22, 0x2d8, v158
	v_add_co_u32 v25, s0, v36, v12
	v_mov_b32_e32 v14, v16
	v_add_co_ci_u32_e64 v26, s0, v37, v13, s0
	v_lshlrev_b64 v[12:13], 4, v[18:19]
	v_mad_u64_u32 v[17:18], null, s20, v22, 0
	v_mad_u64_u32 v[27:28], null, s21, v73, v[14:15]
	v_or_b32_e32 v77, 0x1c0, v158
	v_add_co_u32 v28, s0, v36, v12
	v_add_co_ci_u32_e64 v29, s0, v37, v13, s0
	v_lshlrev_b64 v[12:13], 4, v[20:21]
	v_mov_b32_e32 v14, v18
	v_mov_b32_e32 v16, v27
	v_mad_u64_u32 v[19:20], null, s20, v74, 0
	v_add_nc_u32_e32 v27, 0x310, v158
	v_mad_u64_u32 v[21:22], null, s21, v22, v[14:15]
	v_add_co_u32 v30, s0, v36, v12
	v_add_co_ci_u32_e64 v31, s0, v37, v13, s0
	v_lshlrev_b64 v[12:13], 4, v[15:16]
	v_mad_u64_u32 v[15:16], null, s20, v27, 0
	v_mov_b32_e32 v14, v20
	v_mov_b32_e32 v18, v21
	v_add_nc_u32_e32 v38, 0x3b8, v158
	s_clause 0x1
	global_load_dwordx4 v[0:3], v[0:1], off
	global_load_dwordx4 v[4:7], v[4:5], off
	v_mad_u64_u32 v[20:21], null, s21, v74, v[14:15]
	v_add_co_u32 v21, s0, v36, v12
	v_mov_b32_e32 v14, v16
	v_add_co_ci_u32_e64 v22, s0, v37, v13, s0
	v_lshlrev_b64 v[12:13], 4, v[17:18]
	v_mad_u64_u32 v[17:18], null, s20, v75, 0
	v_mad_u64_u32 v[32:33], null, s21, v27, v[14:15]
	v_add_nc_u32_e32 v27, 0x348, v158
	v_add_co_u32 v40, s0, v36, v12
	v_add_co_ci_u32_e64 v41, s0, v37, v13, s0
	v_lshlrev_b64 v[12:13], 4, v[19:20]
	v_mov_b32_e32 v14, v18
	v_mad_u64_u32 v[19:20], null, s20, v27, 0
	v_mov_b32_e32 v16, v32
	v_add_co_u32 v42, s0, v36, v12
	v_mad_u64_u32 v[32:33], null, s21, v75, v[14:15]
	v_add_co_ci_u32_e64 v43, s0, v37, v13, s0
	v_lshlrev_b64 v[13:14], 4, v[15:16]
	v_mad_u64_u32 v[15:16], null, s20, v76, 0
	v_mov_b32_e32 v12, v20
	v_mov_b32_e32 v18, v32
	v_add_co_u32 v44, s0, v36, v13
	v_mad_u64_u32 v[33:34], null, s21, v27, v[12:13]
	v_add_co_ci_u32_e64 v45, s0, v37, v14, s0
	v_mov_b32_e32 v14, v16
	v_or_b32_e32 v27, 0x380, v158
	v_lshlrev_b64 v[12:13], 4, v[17:18]
	v_mov_b32_e32 v20, v33
	v_mad_u64_u32 v[16:17], null, s21, v76, v[14:15]
	v_mad_u64_u32 v[17:18], null, s20, v27, 0
	;; [unrolled: 1-line block ×3, first 2 shown]
	v_add_co_u32 v46, s0, v36, v12
	v_add_co_ci_u32_e64 v47, s0, v37, v13, s0
	v_lshlrev_b64 v[12:13], 4, v[19:20]
	v_mad_u64_u32 v[19:20], null, s20, v38, 0
	v_mov_b32_e32 v14, v18
	v_mov_b32_e32 v18, v33
	v_add_co_u32 v48, s0, v36, v12
	v_mad_u64_u32 v[33:34], null, s21, v27, v[14:15]
	v_mad_u64_u32 v[34:35], null, s21, v77, v[18:19]
	v_add_co_ci_u32_e64 v49, s0, v37, v13, s0
	v_lshlrev_b64 v[13:14], 4, v[15:16]
	v_mov_b32_e32 v12, v20
	v_mov_b32_e32 v18, v33
	;; [unrolled: 1-line block ×3, first 2 shown]
	v_mad_u64_u32 v[34:35], null, s21, v38, v[12:13]
	v_lshlrev_b64 v[16:17], 4, v[17:18]
	v_add_co_u32 v78, s0, v36, v13
	v_add_co_ci_u32_e64 v79, s0, v37, v14, s0
	s_clause 0x1
	global_load_dwordx4 v[12:15], v[8:9], off
	global_load_dwordx4 v[56:59], v[10:11], off
	v_mov_b32_e32 v20, v34
	v_lshlrev_b64 v[8:9], 4, v[32:33]
	v_add_co_u32 v10, s0, v36, v16
	v_add_co_ci_u32_e64 v11, s0, v37, v17, s0
	v_lshlrev_b64 v[16:17], 4, v[19:20]
	v_add_co_u32 v8, s0, v36, v8
	v_add_co_ci_u32_e64 v9, s0, v37, v9, s0
	v_add_co_u32 v80, s0, v36, v16
	v_add_co_ci_u32_e64 v81, s0, v37, v17, s0
	s_clause 0xd
	global_load_dwordx4 v[36:39], v[23:24], off
	global_load_dwordx4 v[68:71], v[25:26], off
	;; [unrolled: 1-line block ×14, first 2 shown]
.LBB0_13:
	s_or_b32 exec_lo, exec_lo, s1
	s_waitcnt vmcnt(0)
	v_add_f64 v[126:127], v[8:9], -v[44:45]
	v_add_f64 v[122:123], v[16:17], -v[40:41]
	;; [unrolled: 1-line block ×10, first 2 shown]
	v_lshl_add_u32 v131, v74, 4, 0
	v_lshl_add_u32 v132, v75, 4, 0
	v_lshlrev_b32_e32 v6, 3, v74
	v_lshlrev_b32_e32 v7, 3, v75
	v_lshl_add_u32 v128, v158, 4, 0
	v_lshl_add_u32 v129, v72, 4, 0
	;; [unrolled: 1-line block ×3, first 2 shown]
	v_sub_nc_u32_e32 v69, v131, v6
	v_lshl_add_u32 v90, v159, 4, 0
	v_lshl_add_u32 v130, v73, 4, 0
	;; [unrolled: 1-line block ×3, first 2 shown]
	v_lshlrev_b32_e32 v40, 3, v76
	v_fma_f64 v[124:125], v[8:9], 2.0, -v[126:127]
	v_add_f64 v[8:9], v[14:15], -v[58:59]
	v_fma_f64 v[120:121], v[16:17], 2.0, -v[122:123]
	v_add_f64 v[16:17], v[38:39], -v[70:71]
	;; [unrolled: 2-line block ×3, first 2 shown]
	v_fma_f64 v[91:92], v[12:13], 2.0, -v[93:94]
	v_fma_f64 v[104:105], v[32:33], 2.0, -v[106:107]
	v_add_f64 v[32:33], v[30:31], -v[62:63]
	v_add_f64 v[12:13], v[10:11], -v[46:47]
	v_fma_f64 v[108:109], v[28:29], 2.0, -v[110:111]
	v_add_f64 v[28:29], v[26:27], -v[54:55]
	v_fma_f64 v[112:113], v[24:25], 2.0, -v[114:115]
	;; [unrolled: 2-line block ×3, first 2 shown]
	v_fma_f64 v[116:117], v[20:21], 2.0, -v[118:119]
	v_add_f64 v[20:21], v[18:19], -v[42:43]
	v_fma_f64 v[2:3], v[2:3], 2.0, -v[4:5]
	v_sub_nc_u32_e32 v70, v132, v7
	v_lshlrev_b32_e32 v0, 3, v158
	v_lshlrev_b32_e32 v1, 3, v72
	v_lshl_add_u32 v134, v77, 4, 0
	s_load_dwordx2 s[4:5], s[4:5], 0x0
	v_fma_f64 v[6:7], v[14:15], 2.0, -v[8:9]
	v_sub_nc_u32_e32 v85, v128, v0
	v_fma_f64 v[14:15], v[38:39], 2.0, -v[16:17]
	v_lshlrev_b32_e32 v0, 3, v73
	v_fma_f64 v[34:35], v[34:35], 2.0, -v[36:37]
	ds_write_b128 v128, v[78:81]
	ds_write_b128 v86, v[91:94]
	;; [unrolled: 1-line block ×9, first 2 shown]
	v_fma_f64 v[30:31], v[30:31], 2.0, -v[32:33]
	v_fma_f64 v[10:11], v[10:11], 2.0, -v[12:13]
	;; [unrolled: 1-line block ×4, first 2 shown]
	v_sub_nc_u32_e32 v80, v129, v1
	v_lshlrev_b32_e32 v1, 3, v77
	v_fma_f64 v[18:19], v[18:19], 2.0, -v[20:21]
	v_lshlrev_b32_e32 v92, 3, v159
	v_lshlrev_b32_e32 v91, 3, v84
	v_sub_nc_u32_e32 v81, v130, v0
	v_sub_nc_u32_e32 v0, v133, v40
	;; [unrolled: 1-line block ×5, first 2 shown]
	s_waitcnt lgkmcnt(0)
	s_barrier
	buffer_gl0_inv
	v_add_nc_u32_e32 v87, 0xc00, v85
	v_add_nc_u32_e32 v88, 0x1000, v85
	v_add_nc_u32_e32 v71, 0x1400, v85
	v_add_nc_u32_e32 v89, 0x1800, v85
	ds_read_b64 v[54:55], v85
	ds_read_b64 v[56:57], v80
	ds_read_b64 v[58:59], v81
	ds_read_b64 v[60:61], v69
	ds_read_b64 v[62:63], v70
	ds_read_b64 v[64:65], v0
	ds_read_b64 v[66:67], v1
	ds_read_b64 v[78:79], v68
	ds_read_b64 v[82:83], v93
	ds_read_b64 v[94:95], v85 offset:7616
	ds_read2_b64 v[38:41], v87 offset0:120 offset1:176
	ds_read2_b64 v[42:45], v88 offset0:104 offset1:160
	ds_read2_b64 v[46:49], v71 offset0:88 offset1:144
	ds_read2_b64 v[50:53], v89 offset0:72 offset1:128
	s_waitcnt lgkmcnt(0)
	s_barrier
	buffer_gl0_inv
	ds_write_b128 v128, v[2:5]
	ds_write_b128 v86, v[6:9]
	;; [unrolled: 1-line block ×4, first 2 shown]
	v_and_b32_e32 v34, 1, v158
	ds_write_b128 v130, v[30:33]
	ds_write_b128 v131, v[26:29]
	;; [unrolled: 1-line block ×5, first 2 shown]
	s_waitcnt lgkmcnt(0)
	s_barrier
	v_lshlrev_b32_e32 v2, 4, v34
	buffer_gl0_inv
	ds_read2_b64 v[15:18], v87 offset0:120 offset1:176
	ds_read2_b64 v[19:22], v88 offset0:104 offset1:160
	;; [unrolled: 1-line block ×3, first 2 shown]
	global_load_dwordx4 v[11:14], v2, s[8:9]
	ds_read2_b64 v[27:30], v89 offset0:72 offset1:128
	ds_read_b64 v[31:32], v85 offset:7616
	v_lshlrev_b32_e32 v4, 1, v159
	v_lshlrev_b32_e32 v5, 1, v72
	;; [unrolled: 1-line block ×5, first 2 shown]
	v_and_or_b32 v118, 0x1fc, v4, v34
	v_and_or_b32 v119, 0x1fc, v5, v34
	;; [unrolled: 1-line block ×3, first 2 shown]
	v_lshlrev_b32_e32 v7, 1, v74
	v_lshlrev_b32_e32 v8, 1, v75
	v_lshl_add_u32 v143, v118, 3, 0
	v_lshl_add_u32 v144, v119, 3, 0
	v_lshlrev_b32_e32 v9, 1, v76
	v_lshlrev_b32_e32 v10, 1, v77
	v_lshl_add_u32 v141, v37, 3, 0
	v_and_or_b32 v77, 0xfc, v3, v34
	v_and_or_b32 v135, 0x3fc, v6, v34
	;; [unrolled: 1-line block ×6, first 2 shown]
	ds_read_b64 v[33:34], v68
	ds_read_b64 v[35:36], v93
	;; [unrolled: 1-line block ×3, first 2 shown]
	v_lshl_add_u32 v142, v77, 3, 0
	v_and_b32_e32 v134, 3, v158
	v_cmp_gt_u32_e64 s0, 48, v158
	s_mov_b32 s6, 0xe8584caa
	s_mov_b32 s7, 0x3febb67a
	s_mov_b32 s11, 0xbfebb67a
	v_lshlrev_b32_e32 v140, 4, v134
	s_mov_b32 s10, s6
	v_mov_b32_e32 v160, 5
	v_sub_nc_u32_e32 v91, 0, v91
	s_waitcnt vmcnt(0) lgkmcnt(7)
	v_mul_f64 v[100:101], v[15:16], v[13:14]
	v_mul_f64 v[102:103], v[17:18], v[13:14]
	s_waitcnt lgkmcnt(6)
	v_mul_f64 v[104:105], v[19:20], v[13:14]
	v_mul_f64 v[106:107], v[21:22], v[13:14]
	s_waitcnt lgkmcnt(5)
	;; [unrolled: 3-line block ×3, first 2 shown]
	v_mul_f64 v[112:113], v[27:28], v[13:14]
	v_mul_f64 v[114:115], v[29:30], v[13:14]
	;; [unrolled: 1-line block ×3, first 2 shown]
	s_waitcnt lgkmcnt(3)
	v_mul_f64 v[116:117], v[31:32], v[13:14]
	v_mul_f64 v[120:121], v[40:41], v[13:14]
	;; [unrolled: 1-line block ×9, first 2 shown]
	v_fma_f64 v[37:38], v[38:39], v[11:12], -v[100:101]
	v_fma_f64 v[39:40], v[40:41], v[11:12], -v[102:103]
	;; [unrolled: 1-line block ×8, first 2 shown]
	v_fma_f64 v[15:16], v[15:16], v[11:12], v[118:119]
	v_fma_f64 v[94:95], v[94:95], v[11:12], -v[116:117]
	v_fma_f64 v[17:18], v[17:18], v[11:12], v[120:121]
	v_fma_f64 v[19:20], v[19:20], v[11:12], v[122:123]
	;; [unrolled: 1-line block ×8, first 2 shown]
	ds_read_b64 v[100:101], v80
	ds_read_b64 v[102:103], v81
	;; [unrolled: 1-line block ×6, first 2 shown]
	v_lshl_add_u32 v122, v135, 3, 0
	v_lshl_add_u32 v123, v136, 3, 0
	v_lshl_add_u32 v124, v137, 3, 0
	v_add_f64 v[13:14], v[54:55], -v[37:38]
	v_add_f64 v[31:32], v[82:83], -v[39:40]
	;; [unrolled: 1-line block ×8, first 2 shown]
	s_waitcnt lgkmcnt(6)
	v_add_f64 v[51:52], v[75:76], -v[15:16]
	v_add_f64 v[49:50], v[66:67], -v[94:95]
	;; [unrolled: 1-line block ×4, first 2 shown]
	s_waitcnt lgkmcnt(5)
	v_add_f64 v[114:115], v[100:101], -v[21:22]
	s_waitcnt lgkmcnt(4)
	v_add_f64 v[116:117], v[102:103], -v[23:24]
	;; [unrolled: 2-line block ×6, first 2 shown]
	v_lshl_add_u32 v125, v138, 3, 0
	s_barrier
	buffer_gl0_inv
	v_fma_f64 v[11:12], v[54:55], 2.0, -v[13:14]
	v_fma_f64 v[15:16], v[82:83], 2.0, -v[31:32]
	;; [unrolled: 1-line block ×18, first 2 shown]
	v_lshl_add_u32 v67, v139, 3, 0
	ds_write2_b64 v141, v[11:12], v[13:14] offset1:2
	ds_write2_b64 v142, v[15:16], v[31:32] offset1:2
	;; [unrolled: 1-line block ×9, first 2 shown]
	s_waitcnt lgkmcnt(0)
	s_barrier
	buffer_gl0_inv
	ds_read_b64 v[47:48], v85
	ds_read_b64 v[49:50], v80
	;; [unrolled: 1-line block ×9, first 2 shown]
	ds_read_b64 v[108:109], v85 offset:7616
	ds_read2_b64 v[11:14], v87 offset0:120 offset1:176
	ds_read2_b64 v[15:18], v88 offset0:104 offset1:160
	;; [unrolled: 1-line block ×4, first 2 shown]
	s_waitcnt lgkmcnt(0)
	s_barrier
	buffer_gl0_inv
	ds_write2_b64 v141, v[57:58], v[51:52] offset1:2
	ds_write2_b64 v142, v[35:36], v[94:95] offset1:2
	;; [unrolled: 1-line block ×9, first 2 shown]
	s_waitcnt lgkmcnt(0)
	s_barrier
	buffer_gl0_inv
	global_load_dwordx4 v[27:30], v140, s[8:9] offset:32
	ds_read2_b64 v[31:34], v87 offset0:120 offset1:176
	ds_read2_b64 v[35:38], v88 offset0:104 offset1:160
	;; [unrolled: 1-line block ×4, first 2 shown]
	ds_read_b64 v[51:52], v85 offset:7616
	v_and_or_b32 v118, 0xf8, v3, v134
	v_and_or_b32 v119, 0x1f8, v4, v134
	;; [unrolled: 1-line block ×3, first 2 shown]
	ds_read_b64 v[57:58], v68
	ds_read_b64 v[59:60], v93
	;; [unrolled: 1-line block ×3, first 2 shown]
	v_and_b32_e32 v67, 7, v158
	v_lshl_add_u32 v140, v118, 3, 0
	v_lshl_add_u32 v141, v119, 3, 0
	;; [unrolled: 1-line block ×3, first 2 shown]
	v_and_or_b32 v79, 0x78, v2, v134
	v_and_or_b32 v135, 0x3f8, v6, v134
	;; [unrolled: 1-line block ×6, first 2 shown]
	v_lshlrev_b32_e32 v139, 4, v67
	v_lshl_add_u32 v79, v79, 3, 0
	s_waitcnt vmcnt(0) lgkmcnt(7)
	v_mul_f64 v[63:64], v[31:32], v[29:30]
	v_mul_f64 v[118:119], v[11:12], v[29:30]
	v_mul_f64 v[65:66], v[33:34], v[29:30]
	v_mul_f64 v[120:121], v[13:14], v[29:30]
	s_waitcnt lgkmcnt(6)
	v_mul_f64 v[75:76], v[35:36], v[29:30]
	v_mul_f64 v[122:123], v[15:16], v[29:30]
	v_mul_f64 v[77:78], v[37:38], v[29:30]
	v_mul_f64 v[124:125], v[17:18], v[29:30]
	s_waitcnt lgkmcnt(5)
	;; [unrolled: 5-line block ×4, first 2 shown]
	v_mul_f64 v[116:117], v[51:52], v[29:30]
	v_mul_f64 v[29:30], v[108:109], v[29:30]
	v_fma_f64 v[11:12], v[11:12], v[27:28], -v[63:64]
	v_fma_f64 v[31:32], v[31:32], v[27:28], v[118:119]
	v_fma_f64 v[13:14], v[13:14], v[27:28], -v[65:66]
	v_fma_f64 v[33:34], v[33:34], v[27:28], v[120:121]
	;; [unrolled: 2-line block ×9, first 2 shown]
	ds_read_b64 v[65:66], v80
	ds_read_b64 v[75:76], v81
	;; [unrolled: 1-line block ×6, first 2 shown]
	v_lshl_add_u32 v112, v135, 3, 0
	v_lshl_add_u32 v113, v136, 3, 0
	;; [unrolled: 1-line block ×3, first 2 shown]
	v_add_f64 v[11:12], v[47:48], -v[11:12]
	s_waitcnt lgkmcnt(6)
	v_add_f64 v[31:32], v[61:62], -v[31:32]
	v_add_f64 v[13:14], v[106:107], -v[13:14]
	;; [unrolled: 1-line block ×6, first 2 shown]
	v_lshl_add_u32 v115, v138, 3, 0
	v_add_f64 v[19:20], v[53:54], -v[19:20]
	v_lshl_add_u32 v116, v134, 3, 0
	v_add_f64 v[21:22], v[55:56], -v[21:22]
	s_waitcnt lgkmcnt(5)
	v_add_f64 v[37:38], v[65:66], -v[37:38]
	s_waitcnt lgkmcnt(4)
	;; [unrolled: 2-line block ×3, first 2 shown]
	v_add_f64 v[41:42], v[77:78], -v[41:42]
	v_add_f64 v[23:24], v[82:83], -v[23:24]
	s_waitcnt lgkmcnt(2)
	v_add_f64 v[43:44], v[94:95], -v[43:44]
	v_add_f64 v[25:26], v[100:101], -v[25:26]
	s_waitcnt lgkmcnt(1)
	;; [unrolled: 3-line block ×3, first 2 shown]
	v_add_f64 v[27:28], v[110:111], -v[27:28]
	s_barrier
	v_fma_f64 v[47:48], v[47:48], 2.0, -v[11:12]
	v_fma_f64 v[61:62], v[61:62], 2.0, -v[31:32]
	;; [unrolled: 1-line block ×7, first 2 shown]
	buffer_gl0_inv
	v_fma_f64 v[53:54], v[53:54], 2.0, -v[19:20]
	v_and_or_b32 v130, 0x2f0, v7, v67
	v_fma_f64 v[55:56], v[55:56], 2.0, -v[21:22]
	v_fma_f64 v[65:66], v[65:66], 2.0, -v[37:38]
	;; [unrolled: 1-line block ×10, first 2 shown]
	ds_write2_b64 v79, v[47:48], v[11:12] offset1:4
	ds_write2_b64 v140, v[51:52], v[13:14] offset1:4
	;; [unrolled: 1-line block ×9, first 2 shown]
	s_waitcnt lgkmcnt(0)
	s_barrier
	buffer_gl0_inv
	ds_read_b64 v[47:48], v85
	ds_read_b64 v[49:50], v80
	;; [unrolled: 1-line block ×9, first 2 shown]
	ds_read_b64 v[108:109], v85 offset:7616
	ds_read2_b64 v[11:14], v87 offset0:120 offset1:176
	ds_read2_b64 v[15:18], v88 offset0:104 offset1:160
	;; [unrolled: 1-line block ×4, first 2 shown]
	s_waitcnt lgkmcnt(0)
	s_barrier
	buffer_gl0_inv
	ds_write2_b64 v79, v[61:62], v[31:32] offset1:4
	ds_write2_b64 v140, v[59:60], v[33:34] offset1:4
	;; [unrolled: 1-line block ×9, first 2 shown]
	s_waitcnt lgkmcnt(0)
	s_barrier
	buffer_gl0_inv
	global_load_dwordx4 v[27:30], v139, s[8:9] offset:96
	ds_read2_b64 v[31:34], v87 offset0:120 offset1:176
	ds_read2_b64 v[35:38], v88 offset0:104 offset1:160
	v_and_or_b32 v113, 0x3f0, v6, v67
	ds_read_b64 v[6:7], v85 offset:7616
	v_and_or_b32 v43, 0x70, v2, v67
	v_and_or_b32 v44, 0xf0, v3, v67
	;; [unrolled: 1-line block ×4, first 2 shown]
	ds_read2_b64 v[2:5], v71 offset0:88 offset1:144
	ds_read2_b64 v[39:42], v89 offset0:72 offset1:128
	v_and_or_b32 v131, 0x3f0, v8, v67
	v_and_or_b32 v132, 0x3f0, v9, v67
	;; [unrolled: 1-line block ×3, first 2 shown]
	v_lshl_add_u32 v135, v43, 3, 0
	v_lshl_add_u32 v136, v44, 3, 0
	;; [unrolled: 1-line block ×3, first 2 shown]
	ds_read_b64 v[8:9], v68
	ds_read_b64 v[43:44], v93
	;; [unrolled: 1-line block ×3, first 2 shown]
	v_lshl_add_u32 v138, v112, 3, 0
	v_lshl_add_u32 v139, v113, 3, 0
	ds_read_b64 v[112:113], v0
	ds_read_b64 v[0:1], v1
	v_and_b32_e32 v76, 15, v84
	v_and_b32_e32 v75, 15, v158
	;; [unrolled: 1-line block ×3, first 2 shown]
	v_lshlrev_b32_e32 v134, 5, v76
	v_lshlrev_b32_e32 v133, 5, v75
	s_waitcnt vmcnt(0) lgkmcnt(9)
	v_mul_f64 v[57:58], v[31:32], v[29:30]
	v_mul_f64 v[114:115], v[11:12], v[29:30]
	;; [unrolled: 1-line block ×4, first 2 shown]
	s_waitcnt lgkmcnt(8)
	v_mul_f64 v[61:62], v[35:36], v[29:30]
	s_waitcnt lgkmcnt(7)
	v_mul_f64 v[110:111], v[6:7], v[29:30]
	v_mul_f64 v[118:119], v[15:16], v[29:30]
	v_mul_f64 v[65:66], v[37:38], v[29:30]
	v_mul_f64 v[120:121], v[17:18], v[29:30]
	s_waitcnt lgkmcnt(6)
	v_mul_f64 v[78:79], v[2:3], v[29:30]
	v_mul_f64 v[122:123], v[19:20], v[29:30]
	v_mul_f64 v[94:95], v[4:5], v[29:30]
	;; [unrolled: 5-line block ×3, first 2 shown]
	v_mul_f64 v[128:129], v[25:26], v[29:30]
	v_mul_f64 v[29:30], v[108:109], v[29:30]
	v_fma_f64 v[10:11], v[11:12], v[27:28], -v[57:58]
	v_fma_f64 v[31:32], v[31:32], v[27:28], v[114:115]
	v_fma_f64 v[12:13], v[13:14], v[27:28], -v[59:60]
	v_fma_f64 v[33:34], v[33:34], v[27:28], v[116:117]
	v_fma_f64 v[14:15], v[15:16], v[27:28], -v[61:62]
	v_fma_f64 v[57:58], v[108:109], v[27:28], -v[110:111]
	v_fma_f64 v[35:36], v[35:36], v[27:28], v[118:119]
	v_fma_f64 v[16:17], v[17:18], v[27:28], -v[65:66]
	v_fma_f64 v[37:38], v[37:38], v[27:28], v[120:121]
	;; [unrolled: 2-line block ×6, first 2 shown]
	ds_read_b64 v[59:60], v80
	ds_read_b64 v[61:62], v81
	;; [unrolled: 1-line block ×4, first 2 shown]
	v_fma_f64 v[6:7], v[6:7], v[27:28], v[29:30]
	v_add_nc_u32_e32 v94, 0x800, v85
	v_lshl_add_u32 v95, v130, 3, 0
	v_lshl_add_u32 v114, v131, 3, 0
	v_add_f64 v[10:11], v[47:48], -v[10:11]
	s_waitcnt lgkmcnt(6)
	v_add_f64 v[28:29], v[45:46], -v[31:32]
	v_add_f64 v[12:13], v[102:103], -v[12:13]
	;; [unrolled: 1-line block ×7, first 2 shown]
	v_lshl_add_u32 v115, v132, 3, 0
	v_add_f64 v[18:19], v[51:52], -v[18:19]
	v_lshl_add_u32 v116, v67, 3, 0
	v_add_f64 v[20:21], v[53:54], -v[20:21]
	s_waitcnt lgkmcnt(3)
	v_add_f64 v[34:35], v[59:60], -v[37:38]
	s_waitcnt lgkmcnt(2)
	;; [unrolled: 2-line block ×3, first 2 shown]
	v_add_f64 v[104:105], v[65:66], -v[4:5]
	v_add_f64 v[22:23], v[55:56], -v[22:23]
	s_waitcnt lgkmcnt(0)
	v_add_f64 v[38:39], v[78:79], -v[39:40]
	v_add_f64 v[24:25], v[63:64], -v[24:25]
	v_add_f64 v[40:41], v[112:113], -v[41:42]
	v_add_f64 v[106:107], v[0:1], -v[6:7]
	s_barrier
	v_fma_f64 v[2:3], v[47:48], 2.0, -v[10:11]
	v_fma_f64 v[45:46], v[45:46], 2.0, -v[28:29]
	;; [unrolled: 1-line block ×8, first 2 shown]
	v_lshlrev_b32_e32 v44, 5, v77
	v_fma_f64 v[49:50], v[51:52], 2.0, -v[18:19]
	buffer_gl0_inv
	v_fma_f64 v[51:52], v[53:54], 2.0, -v[20:21]
	v_fma_f64 v[100:101], v[59:60], 2.0, -v[34:35]
	;; [unrolled: 1-line block ×9, first 2 shown]
	ds_write2_b64 v135, v[2:3], v[10:11] offset1:8
	ds_write2_b64 v136, v[4:5], v[12:13] offset1:8
	;; [unrolled: 1-line block ×9, first 2 shown]
	s_waitcnt lgkmcnt(0)
	s_barrier
	buffer_gl0_inv
	ds_read_b64 v[60:61], v85
	ds_read2_b64 v[0:3], v88 offset0:104 offset1:160
	ds_read2_b64 v[8:11], v94 offset0:136 offset1:192
	ds_read_b64 v[56:57], v80
	ds_read_b64 v[54:55], v81
	ds_read_b64 v[66:67], v70
	ds_read_b64 v[52:53], v69
	ds_read_b64 v[58:59], v68
	ds_read_b64 v[62:63], v93
	ds_read_b64 v[64:65], v85 offset:7616
	ds_read2_b64 v[24:27], v71 offset0:88 offset1:144
	ds_read2_b64 v[4:7], v87 offset0:120 offset1:176
	;; [unrolled: 1-line block ×3, first 2 shown]
	s_waitcnt lgkmcnt(0)
	s_barrier
	buffer_gl0_inv
	ds_write2_b64 v135, v[45:46], v[28:29] offset1:8
	ds_write2_b64 v136, v[42:43], v[30:31] offset1:8
	;; [unrolled: 1-line block ×9, first 2 shown]
	s_waitcnt lgkmcnt(0)
	s_barrier
	buffer_gl0_inv
	s_clause 0x4
	global_load_dwordx4 v[36:39], v134, s[8:9] offset:240
	global_load_dwordx4 v[12:15], v133, s[8:9] offset:240
	;; [unrolled: 1-line block ×5, first 2 shown]
	v_and_b32_e32 v78, 15, v74
	v_lshrrev_b32_e32 v82, 4, v84
	v_lshrrev_b32_e32 v100, 4, v72
	;; [unrolled: 1-line block ×4, first 2 shown]
	v_lshlrev_b32_e32 v48, 5, v78
	s_clause 0x2
	global_load_dwordx4 v[40:43], v48, s[8:9] offset:224
	global_load_dwordx4 v[44:47], v44, s[8:9] offset:224
	;; [unrolled: 1-line block ×3, first 2 shown]
	v_and_b32_e32 v103, 0xff, v84
	v_mul_lo_u32 v108, v82, 48
	v_mul_lo_u32 v109, v100, 48
	;; [unrolled: 1-line block ×4, first 2 shown]
	v_mul_lo_u16 v82, 0xab, v103
	ds_read2_b64 v[100:103], v71 offset0:88 offset1:144
	v_lshrrev_b32_e32 v95, 4, v159
	v_and_b32_e32 v104, 0xff, v159
	v_lshrrev_b32_e32 v79, 4, v158
	v_and_b32_e32 v105, 0xff, v72
	v_mov_b32_e32 v106, 0xaaab
	v_mul_lo_u32 v95, v95, 48
	v_subrev_nc_u32_e32 v107, 48, v158
	v_mul_lo_u16 v104, 0xab, v104
	v_mul_u32_u24_e32 v79, 48, v79
	v_mul_lo_u16 v112, 0xab, v105
	v_mul_u32_u24_sdwa v113, v73, v106 dst_sel:DWORD dst_unused:UNUSED_PAD src0_sel:WORD_0 src1_sel:DWORD
	v_cndmask_b32_e64 v161, v107, v158, s0
	v_mul_u32_u24_sdwa v162, v74, v106 dst_sel:DWORD dst_unused:UNUSED_PAD src0_sel:WORD_0 src1_sel:DWORD
	v_lshrrev_b16 v164, 13, v104
	ds_read2_b64 v[104:107], v89 offset0:72 offset1:128
	v_or_b32_e32 v79, v79, v75
	v_or_b32_e32 v140, v108, v76
	;; [unrolled: 1-line block ×6, first 2 shown]
	ds_read2_b64 v[75:78], v94 offset0:136 offset1:192
	ds_read_b64 v[118:119], v70
	ds_read2_b64 v[108:111], v88 offset0:104 offset1:160
	v_lshrrev_b16 v165, 13, v112
	v_lshrrev_b32_e32 v166, 21, v113
	ds_read2_b64 v[112:115], v87 offset0:120 offset1:176
	ds_read_b64 v[128:129], v69
	ds_read_b64 v[132:133], v68
	;; [unrolled: 1-line block ×3, first 2 shown]
	v_lshl_add_u32 v169, v140, 3, 0
	v_lshl_add_u32 v170, v141, 3, 0
	;; [unrolled: 1-line block ×4, first 2 shown]
	v_mov_b32_e32 v83, 0
	v_lshrrev_b16 v163, 13, v82
	v_lshlrev_b32_e32 v82, 1, v161
	v_lshl_add_u32 v79, v79, 3, 0
	v_lshl_add_u32 v95, v95, 3, 0
	v_mul_lo_u16 v167, v164, 48
	v_mul_lo_u16 v144, v163, 48
	v_lshlrev_b64 v[82:83], 4, v[82:83]
	v_lshrrev_b32_e32 v162, 21, v162
	v_mul_lo_u16 v168, v165, 48
	v_sub_nc_u16 v167, v159, v167
	v_sub_nc_u16 v173, v84, v144
	v_add_co_u32 v82, s0, s8, v82
	v_add_co_ci_u32_e64 v83, s0, s9, v83, s0
	v_sub_nc_u16 v168, v72, v168
	v_cmp_lt_u32_e64 s0, 47, v158
	s_waitcnt vmcnt(6)
	v_mul_f64 v[122:123], v[26:27], v[14:15]
	s_waitcnt lgkmcnt(8)
	v_mul_f64 v[120:121], v[102:103], v[14:15]
	v_mul_f64 v[116:117], v[100:101], v[38:39]
	;; [unrolled: 1-line block ×3, first 2 shown]
	s_waitcnt vmcnt(5) lgkmcnt(7)
	v_mul_f64 v[124:125], v[104:105], v[34:35]
	v_mul_f64 v[34:35], v[20:21], v[34:35]
	s_waitcnt vmcnt(4) lgkmcnt(6)
	v_mul_f64 v[130:131], v[75:76], v[30:31]
	v_mul_f64 v[30:31], v[8:9], v[30:31]
	v_mul_f64 v[138:139], v[2:3], v[14:15]
	s_waitcnt vmcnt(3)
	v_mul_f64 v[136:137], v[77:78], v[18:19]
	v_mul_f64 v[126:127], v[106:107], v[14:15]
	v_fma_f64 v[102:103], v[102:103], v[12:13], v[122:123]
	s_waitcnt lgkmcnt(4)
	v_mul_f64 v[122:123], v[110:111], v[14:15]
	v_fma_f64 v[24:25], v[24:25], v[36:37], -v[116:117]
	v_fma_f64 v[36:37], v[100:101], v[36:37], v[38:39]
	v_mul_f64 v[38:39], v[118:119], v[18:19]
	v_fma_f64 v[26:27], v[26:27], v[12:13], -v[120:121]
	ds_read_b64 v[116:117], v85 offset:7616
	ds_read_b64 v[120:121], v85
	v_mul_f64 v[100:101], v[66:67], v[18:19]
	v_fma_f64 v[20:21], v[20:21], v[32:33], -v[124:125]
	v_fma_f64 v[32:33], v[104:105], v[32:33], v[34:35]
	v_mul_f64 v[104:105], v[10:11], v[18:19]
	s_waitcnt vmcnt(1) lgkmcnt(5)
	v_mul_f64 v[124:125], v[112:113], v[46:47]
	v_fma_f64 v[8:9], v[8:9], v[28:29], -v[130:131]
	v_fma_f64 v[28:29], v[75:76], v[28:29], v[30:31]
	v_mul_f64 v[30:31], v[4:5], v[46:47]
	v_mul_f64 v[46:47], v[114:115], v[18:19]
	;; [unrolled: 1-line block ×6, first 2 shown]
	v_fma_f64 v[10:11], v[10:11], v[16:17], -v[136:137]
	v_fma_f64 v[22:23], v[22:23], v[12:13], -v[126:127]
	v_fma_f64 v[2:3], v[2:3], v[12:13], -v[122:123]
	v_fma_f64 v[38:39], v[66:67], v[16:17], -v[38:39]
	s_waitcnt vmcnt(0) lgkmcnt(1)
	v_mul_f64 v[66:67], v[116:117], v[50:51]
	v_mul_f64 v[50:51], v[64:65], v[50:51]
	v_fma_f64 v[75:76], v[118:119], v[16:17], v[100:101]
	v_fma_f64 v[100:101], v[110:111], v[12:13], v[138:139]
	ds_read_b64 v[110:111], v81
	v_fma_f64 v[77:78], v[77:78], v[16:17], v[104:105]
	v_fma_f64 v[4:5], v[4:5], v[44:45], -v[124:125]
	ds_read_b64 v[104:105], v80
	v_add_f64 v[138:139], v[28:29], v[36:37]
	v_fma_f64 v[30:31], v[112:113], v[44:45], v[30:31]
	v_fma_f64 v[6:7], v[6:7], v[16:17], -v[46:47]
	v_fma_f64 v[12:13], v[106:107], v[12:13], v[14:15]
	v_fma_f64 v[0:1], v[0:1], v[40:41], -v[34:35]
	v_fma_f64 v[14:15], v[114:115], v[16:17], v[18:19]
	v_fma_f64 v[16:17], v[108:109], v[40:41], v[42:43]
	v_add_f64 v[46:47], v[8:9], v[24:25]
	s_waitcnt lgkmcnt(0)
	s_barrier
	buffer_gl0_inv
	v_add_f64 v[40:41], v[38:39], v[2:3]
	v_fma_f64 v[18:19], v[64:65], v[48:49], -v[66:67]
	v_fma_f64 v[34:35], v[116:117], v[48:49], v[50:51]
	v_add_f64 v[42:43], v[60:61], v[38:39]
	v_add_f64 v[44:45], v[75:76], -v[100:101]
	v_add_f64 v[124:125], v[120:121], v[75:76]
	v_add_f64 v[75:76], v[75:76], v[100:101]
	;; [unrolled: 1-line block ×5, first 2 shown]
	v_add_f64 v[106:107], v[77:78], -v[102:103]
	v_add_f64 v[108:109], v[4:5], v[20:21]
	v_add_f64 v[140:141], v[132:133], v[77:78]
	v_add_f64 v[77:78], v[77:78], v[102:103]
	v_add_f64 v[116:117], v[6:7], v[22:23]
	v_add_f64 v[142:143], v[30:31], v[32:33]
	v_add_f64 v[38:39], v[38:39], -v[2:3]
	v_add_f64 v[114:115], v[30:31], -v[32:33]
	v_add_f64 v[122:123], v[14:15], -v[12:13]
	v_add_f64 v[30:31], v[104:105], v[30:31]
	v_add_f64 v[50:51], v[28:29], -v[36:37]
	v_fma_f64 v[46:47], v[46:47], -0.5, v[62:63]
	v_fma_f64 v[40:41], v[40:41], -0.5, v[60:61]
	v_add_f64 v[126:127], v[0:1], v[18:19]
	v_add_f64 v[60:61], v[14:15], v[12:13]
	;; [unrolled: 1-line block ×5, first 2 shown]
	v_add_f64 v[130:131], v[16:17], -v[34:35]
	v_add_f64 v[16:17], v[128:129], v[16:17]
	v_fma_f64 v[62:63], v[75:76], -0.5, v[120:121]
	v_add_f64 v[8:9], v[8:9], -v[24:25]
	v_add_f64 v[28:29], v[134:135], v[28:29]
	v_add_f64 v[24:25], v[48:49], v[24:25]
	v_fma_f64 v[48:49], v[64:65], -0.5, v[58:59]
	v_fma_f64 v[64:65], v[138:139], -0.5, v[134:135]
	v_add_f64 v[112:113], v[56:57], v[4:5]
	v_add_f64 v[10:11], v[10:11], -v[26:27]
	v_add_f64 v[26:27], v[66:67], v[26:27]
	v_fma_f64 v[56:57], v[108:109], -0.5, v[56:57]
	v_fma_f64 v[66:67], v[77:78], -0.5, v[132:133]
	v_add_f64 v[118:119], v[54:55], v[6:7]
	v_add_f64 v[4:5], v[4:5], -v[20:21]
	v_fma_f64 v[54:55], v[116:117], -0.5, v[54:55]
	v_fma_f64 v[75:76], v[142:143], -0.5, v[104:105]
	v_add_f64 v[136:137], v[52:53], v[0:1]
	v_add_f64 v[6:7], v[6:7], -v[22:23]
	v_fma_f64 v[52:53], v[126:127], -0.5, v[52:53]
	v_fma_f64 v[60:61], v[60:61], -0.5, v[110:111]
	v_add_f64 v[0:1], v[0:1], -v[18:19]
	v_fma_f64 v[42:43], v[42:43], -0.5, v[128:129]
	v_add_f64 v[30:31], v[30:31], v[32:33]
	v_add_f64 v[32:33], v[14:15], v[12:13]
	v_fma_f64 v[12:13], v[44:45], s[6:7], v[40:41]
	v_fma_f64 v[14:15], v[44:45], s[10:11], v[40:41]
	v_add_f64 v[58:59], v[124:125], v[100:101]
	v_add_f64 v[34:35], v[16:17], v[34:35]
	v_fma_f64 v[16:17], v[50:51], s[6:7], v[46:47]
	v_fma_f64 v[100:101], v[38:39], s[10:11], v[62:63]
	;; [unrolled: 1-line block ×4, first 2 shown]
	v_add_f64 v[28:29], v[28:29], v[36:37]
	v_fma_f64 v[44:45], v[106:107], s[6:7], v[48:49]
	v_fma_f64 v[62:63], v[8:9], s[10:11], v[64:65]
	;; [unrolled: 1-line block ×4, first 2 shown]
	v_add_f64 v[20:21], v[112:113], v[20:21]
	v_add_f64 v[36:37], v[140:141], v[102:103]
	v_fma_f64 v[48:49], v[114:115], s[6:7], v[56:57]
	v_fma_f64 v[102:103], v[10:11], s[10:11], v[66:67]
	v_fma_f64 v[50:51], v[114:115], s[10:11], v[56:57]
	v_fma_f64 v[66:67], v[10:11], s[6:7], v[66:67]
	v_add_f64 v[22:23], v[118:119], v[22:23]
	v_fma_f64 v[56:57], v[122:123], s[6:7], v[54:55]
	v_fma_f64 v[104:105], v[4:5], s[10:11], v[75:76]
	v_fma_f64 v[54:55], v[122:123], s[10:11], v[54:55]
	v_fma_f64 v[75:76], v[4:5], s[6:7], v[75:76]
	;; [unrolled: 5-line block ×3, first 2 shown]
	v_fma_f64 v[108:109], v[0:1], s[10:11], v[42:43]
	v_fma_f64 v[42:43], v[0:1], s[6:7], v[42:43]
	ds_write2_b64 v79, v[2:3], v[12:13] offset1:16
	ds_write_b64 v79, v[14:15] offset:256
	ds_write2_b64 v169, v[24:25], v[16:17] offset1:16
	ds_write_b64 v169, v[40:41] offset:256
	;; [unrolled: 2-line block ×6, first 2 shown]
	v_lshlrev_b32_sdwa v24, v160, v173 dst_sel:DWORD dst_unused:UNUSED_PAD src0_sel:DWORD src1_sel:BYTE_0
	s_waitcnt lgkmcnt(0)
	s_barrier
	buffer_gl0_inv
	ds_read_b64 v[144:145], v85
	ds_read_b64 v[146:147], v80
	;; [unrolled: 1-line block ×7, first 2 shown]
	ds_read_b64 v[156:157], v85 offset:7616
	ds_read2_b64 v[0:3], v88 offset0:104 offset1:160
	ds_read2_b64 v[4:7], v94 offset0:136 offset1:192
	;; [unrolled: 1-line block ×5, first 2 shown]
	s_waitcnt lgkmcnt(0)
	s_barrier
	buffer_gl0_inv
	ds_write2_b64 v79, v[58:59], v[100:101] offset1:16
	ds_write_b64 v79, v[38:39] offset:256
	ds_write2_b64 v169, v[28:29], v[62:63] offset1:16
	ds_write_b64 v169, v[64:65] offset:256
	;; [unrolled: 2-line block ×6, first 2 shown]
	s_waitcnt lgkmcnt(0)
	s_barrier
	buffer_gl0_inv
	s_clause 0x1
	global_load_dwordx4 v[20:23], v[82:83], off offset:736
	global_load_dwordx4 v[34:37], v24, s[8:9] offset:736
	v_mul_lo_u16 v25, v166, 48
	v_lshlrev_b32_sdwa v28, v160, v167 dst_sel:DWORD dst_unused:UNUSED_PAD src0_sel:DWORD src1_sel:BYTE_0
	v_lshlrev_b32_sdwa v29, v160, v168 dst_sel:DWORD dst_unused:UNUSED_PAD src0_sel:DWORD src1_sel:BYTE_0
	v_add_nc_u32_e32 v95, 0x400, v85
	v_sub_nc_u16 v169, v73, v25
	global_load_dwordx4 v[62:65], v28, s[8:9] offset:736
	v_mul_lo_u16 v25, v162, 48
	s_clause 0x1
	global_load_dwordx4 v[75:78], v24, s[8:9] offset:752
	global_load_dwordx4 v[100:103], v28, s[8:9] offset:752
	v_lshlrev_b32_sdwa v30, v160, v169 dst_sel:DWORD dst_unused:UNUSED_PAD src0_sel:DWORD src1_sel:WORD_0
	s_clause 0x2
	global_load_dwordx4 v[104:107], v29, s[8:9] offset:736
	global_load_dwordx4 v[108:111], v30, s[8:9] offset:736
	;; [unrolled: 1-line block ×3, first 2 shown]
	v_sub_nc_u16 v170, v74, v25
	v_lshlrev_b32_sdwa v24, v160, v170 dst_sel:DWORD dst_unused:UNUSED_PAD src0_sel:DWORD src1_sel:WORD_0
	s_clause 0x3
	global_load_dwordx4 v[116:119], v30, s[8:9] offset:752
	global_load_dwordx4 v[56:59], v[82:83], off offset:752
	global_load_dwordx4 v[120:123], v24, s[8:9] offset:736
	global_load_dwordx4 v[124:127], v24, s[8:9] offset:752
	ds_read_b64 v[28:29], v70
	ds_read2_b64 v[128:131], v94 offset0:136 offset1:192
	ds_read2_b64 v[132:135], v71 offset0:88 offset1:144
	;; [unrolled: 1-line block ×3, first 2 shown]
	ds_read_b64 v[24:25], v69
	ds_read2_b64 v[140:143], v89 offset0:72 offset1:128
	ds_read2_b64 v[70:73], v88 offset0:104 offset1:160
	s_waitcnt vmcnt(11) lgkmcnt(6)
	v_mul_f64 v[30:31], v[28:29], v[22:23]
	v_mul_f64 v[22:23], v[26:27], v[22:23]
	s_waitcnt vmcnt(10) lgkmcnt(5)
	v_mul_f64 v[32:33], v[128:129], v[36:37]
	v_mul_f64 v[36:37], v[4:5], v[36:37]
	s_waitcnt vmcnt(9)
	v_mul_f64 v[38:39], v[130:131], v[64:65]
	s_waitcnt vmcnt(8) lgkmcnt(4)
	v_mul_f64 v[40:41], v[132:133], v[77:78]
	s_waitcnt vmcnt(7)
	v_mul_f64 v[46:47], v[134:135], v[102:103]
	s_waitcnt vmcnt(6) lgkmcnt(3)
	;; [unrolled: 4-line block ×3, first 2 shown]
	v_mul_f64 v[52:53], v[140:141], v[114:115]
	v_fma_f64 v[26:27], v[26:27], v[20:21], -v[30:31]
	s_waitcnt vmcnt(3)
	v_mul_f64 v[54:55], v[142:143], v[118:119]
	v_fma_f64 v[28:29], v[28:29], v[20:21], v[22:23]
	s_waitcnt vmcnt(2) lgkmcnt(0)
	v_mul_f64 v[20:21], v[72:73], v[58:59]
	ds_read_b64 v[30:31], v93
	v_fma_f64 v[32:33], v[4:5], v[34:35], -v[32:33]
	v_fma_f64 v[42:43], v[128:129], v[34:35], v[36:37]
	ds_read_b64 v[4:5], v85 offset:7616
	ds_read_b64 v[36:37], v85
	s_waitcnt vmcnt(1)
	v_mul_f64 v[22:23], v[70:71], v[122:123]
	v_fma_f64 v[34:35], v[6:7], v[62:63], -v[38:39]
	v_mul_f64 v[6:7], v[6:7], v[64:65]
	v_mul_f64 v[64:65], v[8:9], v[77:78]
	v_fma_f64 v[44:45], v[8:9], v[75:76], -v[40:41]
	v_fma_f64 v[38:39], v[10:11], v[100:101], -v[46:47]
	v_mul_f64 v[8:9], v[10:11], v[102:103]
	v_mul_f64 v[10:11], v[12:13], v[106:107]
	v_fma_f64 v[46:47], v[12:13], v[104:105], -v[48:49]
	;; [unrolled: 4-line block ×3, first 2 shown]
	v_mul_f64 v[16:17], v[18:19], v[118:119]
	ds_read_b64 v[60:61], v68
	v_fma_f64 v[48:49], v[18:19], v[116:117], -v[54:55]
	v_mul_f64 v[18:19], v[2:3], v[58:59]
	v_fma_f64 v[58:59], v[2:3], v[56:57], -v[20:21]
	s_waitcnt vmcnt(0) lgkmcnt(2)
	v_mul_f64 v[2:3], v[4:5], v[126:127]
	v_cndmask_b32_e64 v20, 0, 0x480, s0
	v_lshlrev_b32_e32 v21, 3, v161
	v_mov_b32_e32 v114, 3
	v_fma_f64 v[52:53], v[0:1], v[120:121], -v[22:23]
	v_mul_f64 v[0:1], v[0:1], v[122:123]
	v_mul_u32_u24_e32 v123, 0x480, v162
	v_add3_u32 v122, 0, v20, v21
	v_lshlrev_b32_sdwa v128, v114, v168 dst_sel:DWORD dst_unused:UNUSED_PAD src0_sel:DWORD src1_sel:BYTE_0
	v_lshlrev_b32_sdwa v129, v114, v169 dst_sel:DWORD dst_unused:UNUSED_PAD src0_sel:DWORD src1_sel:WORD_0
	v_cmp_gt_u32_e64 s0, 32, v158
	v_add_f64 v[20:21], v[146:147], v[46:47]
	v_add_f64 v[22:23], v[148:149], v[40:41]
	v_fma_f64 v[66:67], v[140:141], v[112:113], v[14:15]
	v_fma_f64 v[68:69], v[142:143], v[116:117], v[16:17]
	v_add_f64 v[16:17], v[154:155], v[32:33]
	v_fma_f64 v[56:57], v[72:73], v[56:57], v[18:19]
	v_fma_f64 v[72:73], v[130:131], v[62:63], v[6:7]
	v_fma_f64 v[54:55], v[156:157], v[124:125], -v[2:3]
	v_mul_f64 v[2:3], v[156:157], v[126:127]
	v_add_f64 v[6:7], v[26:27], v[58:59]
	v_fma_f64 v[62:63], v[132:133], v[75:76], v[64:65]
	v_fma_f64 v[64:65], v[134:135], v[100:101], v[8:9]
	v_add_f64 v[8:9], v[32:33], v[44:45]
	v_fma_f64 v[74:75], v[136:137], v[104:105], v[10:11]
	v_add_f64 v[10:11], v[34:35], v[38:39]
	;; [unrolled: 2-line block ×4, first 2 shown]
	v_mov_b32_e32 v18, 0x480
	v_add_f64 v[82:83], v[150:151], v[52:53]
	v_lshlrev_b32_sdwa v130, v114, v170 dst_sel:DWORD dst_unused:UNUSED_PAD src0_sel:DWORD src1_sel:WORD_0
	v_add_f64 v[20:21], v[20:21], v[50:51]
	v_add_f64 v[22:23], v[22:23], v[48:49]
	v_mul_u32_u24_sdwa v118, v163, v18 dst_sel:DWORD dst_unused:UNUSED_PAD src0_sel:WORD_0 src1_sel:DWORD
	v_mul_u32_u24_sdwa v119, v164, v18 dst_sel:DWORD dst_unused:UNUSED_PAD src0_sel:WORD_0 src1_sel:DWORD
	;; [unrolled: 1-line block ×3, first 2 shown]
	v_add_f64 v[14:15], v[28:29], -v[56:57]
	v_add_f64 v[18:19], v[152:153], v[34:35]
	v_add_f64 v[16:17], v[16:17], v[44:45]
	v_fma_f64 v[70:71], v[4:5], v[124:125], v[2:3]
	v_add_f64 v[2:3], v[52:53], v[54:55]
	v_add_f64 v[4:5], v[144:145], v[26:27]
	v_fma_f64 v[6:7], v[6:7], -0.5, v[144:145]
	v_add_f64 v[100:101], v[42:43], -v[62:63]
	v_fma_f64 v[8:9], v[8:9], -0.5, v[154:155]
	v_add_f64 v[102:103], v[72:73], -v[64:65]
	v_fma_f64 v[10:11], v[10:11], -0.5, v[152:153]
	v_add_f64 v[106:107], v[74:75], -v[66:67]
	v_fma_f64 v[12:13], v[12:13], -0.5, v[146:147]
	v_add_f64 v[108:109], v[76:77], -v[68:69]
	v_fma_f64 v[0:1], v[0:1], -0.5, v[148:149]
	v_lshlrev_b32_sdwa v124, v114, v173 dst_sel:DWORD dst_unused:UNUSED_PAD src0_sel:DWORD src1_sel:BYTE_0
	v_lshlrev_b32_sdwa v125, v114, v167 dst_sel:DWORD dst_unused:UNUSED_PAD src0_sel:DWORD src1_sel:BYTE_0
	v_add_f64 v[104:105], v[82:83], v[54:55]
	v_mul_u32_u24_e32 v121, 0x480, v166
	v_add3_u32 v123, 0, v123, v130
	v_add3_u32 v127, 0, v118, v124
	v_add3_u32 v126, 0, v119, v125
	v_add3_u32 v125, 0, v120, v128
	v_add_f64 v[18:19], v[18:19], v[38:39]
	v_add3_u32 v124, 0, v121, v129
	v_add_f64 v[110:111], v[78:79], -v[70:71]
	v_fma_f64 v[2:3], v[2:3], -0.5, v[150:151]
	v_add_f64 v[4:5], v[4:5], v[58:59]
	v_fma_f64 v[112:113], v[14:15], s[6:7], v[6:7]
	v_fma_f64 v[6:7], v[14:15], s[10:11], v[6:7]
	;; [unrolled: 1-line block ×10, first 2 shown]
	ds_read_b64 v[82:83], v80
	ds_read_b64 v[80:81], v81
	s_waitcnt lgkmcnt(0)
	s_barrier
	buffer_gl0_inv
	v_fma_f64 v[108:109], v[110:111], s[6:7], v[2:3]
	v_fma_f64 v[106:107], v[110:111], s[10:11], v[2:3]
	ds_write2_b64 v122, v[4:5], v[112:113] offset1:48
	ds_write_b64 v122, v[6:7] offset:768
	ds_write2_b64 v127, v[16:17], v[14:15] offset1:48
	ds_write_b64 v127, v[8:9] offset:768
	ds_write2_b64 v126, v[18:19], v[114:115] offset1:48
	ds_write_b64 v126, v[10:11] offset:768
	ds_write2_b64 v125, v[20:21], v[102:103] offset1:48
	ds_write_b64 v125, v[12:13] offset:768
	ds_write2_b64 v124, v[22:23], v[116:117] offset1:48
	ds_write_b64 v124, v[100:101] offset:768
	ds_write2_b64 v123, v[104:105], v[108:109] offset1:48
	ds_write_b64 v123, v[106:107] offset:768
	s_waitcnt lgkmcnt(0)
	s_barrier
	buffer_gl0_inv
	ds_read_b64 v[128:129], v93
	ds_read_b64 v[130:131], v85 offset:7360
	ds_read2_b64 v[0:3], v85 offset1:144
	ds_read2_b64 v[16:19], v95 offset0:72 offset1:160
	ds_read2_b64 v[4:7], v94 offset0:88 offset1:176
	;; [unrolled: 1-line block ×5, first 2 shown]
	v_sub_nc_u32_e32 v93, 0, v92
	v_lshl_add_u32 v92, v158, 3, 0
                                        ; implicit-def: $vgpr114_vgpr115
                                        ; implicit-def: $vgpr112_vgpr113
                                        ; implicit-def: $vgpr110_vgpr111
	v_add_nc_u32_e32 v90, v90, v93
	s_and_saveexec_b32 s1, s0
	s_cbranch_execz .LBB0_15
; %bb.14:
	ds_read_b64 v[108:109], v85 offset:3200
	ds_read_b64 v[110:111], v85 offset:5504
	;; [unrolled: 1-line block ×5, first 2 shown]
	ds_read_b64 v[100:101], v90
	ds_read_b64 v[114:115], v85 offset:7808
.LBB0_15:
	s_or_b32 exec_lo, exec_lo, s1
	v_add_f64 v[102:103], v[28:29], v[56:57]
	v_add_f64 v[116:117], v[42:43], v[62:63]
	;; [unrolled: 1-line block ×7, first 2 shown]
	v_add_f64 v[26:27], v[26:27], -v[58:59]
	v_add_f64 v[58:59], v[60:61], v[72:73]
	v_add_f64 v[42:43], v[30:31], v[42:43]
	v_add_f64 v[32:33], v[32:33], -v[44:45]
	v_add_f64 v[34:35], v[34:35], -v[38:39]
	v_add_f64 v[72:73], v[82:83], v[74:75]
	v_add_f64 v[44:45], v[46:47], -v[50:51]
	v_add_f64 v[74:75], v[80:81], v[76:77]
	;; [unrolled: 2-line block ×3, first 2 shown]
	v_add_f64 v[50:51], v[52:53], -v[54:55]
	s_waitcnt lgkmcnt(0)
	s_barrier
	buffer_gl0_inv
	v_fma_f64 v[36:37], v[102:103], -0.5, v[36:37]
	v_fma_f64 v[30:31], v[116:117], -0.5, v[30:31]
	;; [unrolled: 1-line block ×6, first 2 shown]
	v_add_f64 v[28:29], v[28:29], v[56:57]
	v_add_f64 v[52:53], v[58:59], v[64:65]
	;; [unrolled: 1-line block ×6, first 2 shown]
	v_fma_f64 v[58:59], v[26:27], s[10:11], v[36:37]
	v_fma_f64 v[26:27], v[26:27], s[6:7], v[36:37]
	;; [unrolled: 1-line block ×12, first 2 shown]
	v_add_nc_u32_e32 v48, v86, v91
	ds_write2_b64 v122, v[28:29], v[58:59] offset1:48
	ds_write_b64 v122, v[26:27] offset:768
	ds_write2_b64 v127, v[42:43], v[36:37] offset1:48
	ds_write_b64 v127, v[30:31] offset:768
	;; [unrolled: 2-line block ×6, first 2 shown]
	s_waitcnt lgkmcnt(0)
	s_barrier
	buffer_gl0_inv
	ds_read2_b64 v[24:27], v85 offset1:144
	ds_read2_b64 v[44:47], v95 offset0:72 offset1:160
	ds_read2_b64 v[28:31], v94 offset0:88 offset1:176
	;; [unrolled: 1-line block ×5, first 2 shown]
	ds_read_b64 v[132:133], v48
	ds_read_b64 v[134:135], v85 offset:7360
                                        ; implicit-def: $vgpr126_vgpr127
                                        ; implicit-def: $vgpr124_vgpr125
                                        ; implicit-def: $vgpr122_vgpr123
	s_and_saveexec_b32 s1, s0
	s_cbranch_execz .LBB0_17
; %bb.16:
	ds_read_b64 v[120:121], v85 offset:3200
	ds_read_b64 v[122:123], v85 offset:5504
	;; [unrolled: 1-line block ×5, first 2 shown]
	ds_read_b64 v[102:103], v90
	ds_read_b64 v[126:127], v85 offset:7808
.LBB0_17:
	s_or_b32 exec_lo, exec_lo, s1
	s_and_saveexec_b32 s1, vcc_lo
	s_cbranch_execz .LBB0_20
; %bb.18:
	v_mul_u32_u24_e32 v48, 6, v158
	v_mul_i32_i24_e32 v136, 6, v84
	v_mov_b32_e32 v137, 0
	v_mul_lo_u32 v138, s4, v99
	v_mul_hi_u32 v139, 0x38e38e39, v158
	v_lshlrev_b32_e32 v50, 4, v48
	v_add_nc_u32_e32 v140, 56, v158
	v_lshlrev_b64 v[48:49], 4, v[136:137]
	v_mul_lo_u32 v136, s5, v98
	v_mad_u64_u32 v[98:99], null, s4, v98, 0
	v_add_co_u32 v50, s1, s8, v50
	v_add_co_ci_u32_e64 v51, null, s9, 0, s1
	v_add_co_u32 v78, vcc_lo, s8, v48
	v_add_co_ci_u32_e32 v79, vcc_lo, s9, v49, vcc_lo
	v_add_co_u32 v52, vcc_lo, 0x8e0, v50
	v_add_co_ci_u32_e32 v53, vcc_lo, 0, v51, vcc_lo
	v_add_co_u32 v80, vcc_lo, 0x800, v78
	v_add_co_ci_u32_e32 v81, vcc_lo, 0, v79, vcc_lo
	v_add_co_u32 v54, vcc_lo, 0x920, v50
	v_add_co_ci_u32_e32 v55, vcc_lo, 0, v51, vcc_lo
	v_add_co_u32 v56, vcc_lo, 0x800, v50
	v_add_co_ci_u32_e32 v57, vcc_lo, 0, v51, vcc_lo
	s_clause 0x6
	global_load_dwordx4 v[68:71], v[52:53], off offset:16
	global_load_dwordx4 v[48:51], v[80:81], off offset:224
	;; [unrolled: 1-line block ×7, first 2 shown]
	v_add_co_u32 v76, vcc_lo, 0x920, v78
	v_add_co_ci_u32_e32 v77, vcc_lo, 0, v79, vcc_lo
	v_add_co_u32 v92, vcc_lo, 0x8e0, v78
	v_add_co_ci_u32_e32 v93, vcc_lo, 0, v79, vcc_lo
	s_clause 0x4
	global_load_dwordx4 v[76:79], v[76:77], off offset:16
	global_load_dwordx4 v[80:83], v[80:81], off offset:288
	;; [unrolled: 1-line block ×5, first 2 shown]
	v_mul_hi_u32 v141, 0x38e38e39, v140
	v_add3_u32 v99, v99, v138, v136
	v_lshrrev_b32_e32 v136, 5, v139
	v_lshlrev_b64 v[96:97], 4, v[96:97]
	s_mov_b32 s24, 0xe976ee23
	s_mov_b32 s26, 0x37e14327
	v_lshlrev_b64 v[98:99], 4, v[98:99]
	v_mul_lo_u32 v136, 0x90, v136
	v_lshrrev_b32_e32 v150, 5, v141
	s_mov_b32 s12, 0x36b3c0b5
	s_mov_b32 s16, 0x429ad128
	;; [unrolled: 1-line block ×3, first 2 shown]
	v_add_co_u32 v98, s1, s14, v98
	v_mul_lo_u32 v138, 0x90, v150
	v_sub_nc_u32_e32 v136, v158, v136
	v_add_co_ci_u32_e64 v99, s1, s15, v99, s1
	v_add_co_u32 v160, s1, v98, v96
	v_add_nc_u32_e32 v153, 0x90, v136
	v_add_nc_u32_e32 v155, 0x120, v136
	;; [unrolled: 1-line block ×3, first 2 shown]
	v_sub_nc_u32_e32 v98, v140, v138
	v_add_nc_u32_e32 v156, 0x1b0, v136
	v_add_nc_u32_e32 v165, 0x360, v136
	v_add_co_ci_u32_e64 v161, s1, v99, v97, s1
	v_mad_u64_u32 v[96:97], null, s2, v136, 0
	v_mad_u64_u32 v[138:139], null, s2, v153, 0
	v_mad_u64_u32 v[140:141], null, s2, v155, 0
	v_mad_u64_u32 v[146:147], null, s2, v163, 0
	v_mad_u64_u32 v[98:99], null, 0x3f0, v150, v[98:99]
	v_add_nc_u32_e32 v157, 0x240, v136
	v_mad_u64_u32 v[142:143], null, s2, v156, 0
	v_mad_u64_u32 v[148:149], null, s2, v165, 0
	;; [unrolled: 1-line block ×4, first 2 shown]
	v_mov_b32_e32 v97, v139
	v_mov_b32_e32 v99, v141
	;; [unrolled: 1-line block ×5, first 2 shown]
	v_add_nc_u32_e32 v177, 0x90, v98
	v_mad_u64_u32 v[151:152], null, s2, v98, 0
	v_mad_u64_u32 v[153:154], null, s3, v153, v[97:98]
	;; [unrolled: 1-line block ×3, first 2 shown]
	v_add_nc_u32_e32 v180, 0x240, v98
	v_add_nc_u32_e32 v181, 0x2d0, v98
	v_mad_u64_u32 v[164:165], null, s3, v165, v[143:144]
	v_mov_b32_e32 v139, v145
	v_mad_u64_u32 v[165:166], null, s2, v177, 0
	v_add_nc_u32_e32 v178, 0x120, v98
	v_mad_u64_u32 v[154:155], null, s3, v155, v[99:100]
	v_add_nc_u32_e32 v179, 0x1b0, v98
	v_add_nc_u32_e32 v182, 0x360, v98
	v_mov_b32_e32 v97, v150
	v_mad_u64_u32 v[155:156], null, s3, v156, v[136:137]
	v_mad_u64_u32 v[171:172], null, s2, v180, 0
	;; [unrolled: 1-line block ×3, first 2 shown]
	v_mov_b32_e32 v99, v152
	v_mad_u64_u32 v[156:157], null, s3, v157, v[139:140]
	v_mad_u64_u32 v[167:168], null, s2, v178, 0
	v_mov_b32_e32 v139, v153
	v_mad_u64_u32 v[169:170], null, s2, v179, 0
	v_mad_u64_u32 v[175:176], null, s2, v182, 0
	v_lshlrev_b64 v[96:97], 4, v[96:97]
	v_mov_b32_e32 v136, v166
	v_mov_b32_e32 v141, v154
	v_mad_u64_u32 v[98:99], null, s3, v98, v[99:100]
	v_lshlrev_b64 v[138:139], 4, v[138:139]
	v_mov_b32_e32 v143, v155
	v_mov_b32_e32 v152, v172
	;; [unrolled: 1-line block ×4, first 2 shown]
	v_mad_u64_u32 v[155:156], null, s3, v177, v[136:137]
	v_mov_b32_e32 v99, v168
	v_lshlrev_b64 v[140:141], 4, v[140:141]
	v_add_co_u32 v96, s1, v160, v96
	v_mov_b32_e32 v150, v170
	v_mov_b32_e32 v154, v176
	v_add_co_ci_u32_e64 v97, s1, v161, v97, s1
	v_mad_u64_u32 v[176:177], null, s3, v180, v[152:153]
	v_lshlrev_b64 v[142:143], 4, v[142:143]
	v_mov_b32_e32 v152, v98
	v_add_co_u32 v98, s1, v160, v138
	v_mov_b32_e32 v147, v163
	v_mad_u64_u32 v[156:157], null, s3, v178, v[99:100]
	v_add_co_ci_u32_e64 v99, s1, v161, v139, s1
	v_lshlrev_b64 v[144:145], 4, v[144:145]
	v_add_co_u32 v138, s1, v160, v140
	v_mov_b32_e32 v149, v164
	v_mad_u64_u32 v[163:164], null, s3, v179, v[150:151]
	v_mad_u64_u32 v[177:178], null, s3, v181, v[153:154]
	v_mad_u64_u32 v[153:154], null, s3, v182, v[154:155]
	v_add_co_ci_u32_e64 v139, s1, v161, v141, s1
	v_lshlrev_b64 v[146:147], 4, v[146:147]
	v_add_co_u32 v140, s1, v160, v142
	v_add_co_ci_u32_e64 v141, s1, v161, v143, s1
	v_lshlrev_b64 v[148:149], 4, v[148:149]
	v_add_co_u32 v142, s1, v160, v144
	v_add_co_ci_u32_e64 v143, s1, v161, v145, s1
	v_add_co_u32 v144, s1, v160, v146
	v_mov_b32_e32 v166, v155
	v_mov_b32_e32 v168, v156
	;; [unrolled: 1-line block ×6, first 2 shown]
	v_add_co_ci_u32_e64 v145, s1, v161, v147, s1
	v_add_co_u32 v146, s1, v160, v148
	v_add_co_ci_u32_e64 v147, s1, v161, v149, s1
	v_lshlrev_b64 v[148:149], 4, v[151:152]
	v_lshlrev_b64 v[150:151], 4, v[165:166]
	;; [unrolled: 1-line block ×7, first 2 shown]
	s_mov_b32 s27, 0x3fe948f6
	s_mov_b32 s13, 0x3fac98ee
	;; [unrolled: 1-line block ×15, first 2 shown]
	v_add_co_u32 v148, s1, v160, v148
	v_add_co_ci_u32_e64 v149, s1, v161, v149, s1
	v_add_co_u32 v150, s1, v160, v150
	v_add_co_ci_u32_e64 v151, s1, v161, v151, s1
	v_add_co_u32 v163, s1, v160, v163
	v_add_co_ci_u32_e64 v164, s1, v161, v164, s1
	v_add_nc_u32_e32 v162, 0x70, v158
	v_cmp_gt_u32_e32 vcc_lo, 0x90, v162
	s_waitcnt vmcnt(11) lgkmcnt(6)
	v_mul_f64 v[167:168], v[46:47], v[70:71]
	v_mul_f64 v[70:71], v[18:19], v[70:71]
	s_waitcnt vmcnt(9) lgkmcnt(2)
	v_mul_f64 v[169:170], v[42:43], v[74:75]
	v_mul_f64 v[74:75], v[22:23], v[74:75]
	s_waitcnt vmcnt(8)
	v_mul_f64 v[171:172], v[26:27], v[66:67]
	v_mul_f64 v[66:67], v[2:3], v[66:67]
	s_waitcnt vmcnt(7)
	;; [unrolled: 3-line block ×3, first 2 shown]
	v_mul_f64 v[175:176], v[30:31], v[58:59]
	s_waitcnt vmcnt(5)
	v_mul_f64 v[177:178], v[34:35], v[54:55]
	v_mul_f64 v[58:59], v[6:7], v[58:59]
	;; [unrolled: 1-line block ×5, first 2 shown]
	s_waitcnt vmcnt(4) lgkmcnt(0)
	v_mul_f64 v[181:182], v[134:135], v[78:79]
	v_mul_f64 v[78:79], v[130:131], v[78:79]
	s_waitcnt vmcnt(3)
	v_mul_f64 v[183:184], v[40:41], v[82:83]
	s_waitcnt vmcnt(2)
	v_mul_f64 v[185:186], v[28:29], v[86:87]
	v_mul_f64 v[82:83], v[20:21], v[82:83]
	;; [unrolled: 1-line block ×3, first 2 shown]
	s_waitcnt vmcnt(1)
	v_mul_f64 v[187:188], v[32:33], v[90:91]
	s_waitcnt vmcnt(0)
	v_mul_f64 v[189:190], v[36:37], v[94:95]
	v_mul_f64 v[90:91], v[8:9], v[90:91]
	;; [unrolled: 1-line block ×3, first 2 shown]
	v_fma_f64 v[18:19], v[18:19], v[68:69], -v[167:168]
	v_fma_f64 v[46:47], v[46:47], v[68:69], v[70:71]
	v_fma_f64 v[22:23], v[22:23], v[72:73], -v[169:170]
	v_fma_f64 v[42:43], v[42:43], v[72:73], v[74:75]
	;; [unrolled: 2-line block ×3, first 2 shown]
	v_fma_f64 v[6:7], v[6:7], v[56:57], -v[175:176]
	v_fma_f64 v[10:11], v[10:11], v[52:53], -v[177:178]
	;; [unrolled: 1-line block ×3, first 2 shown]
	v_fma_f64 v[38:39], v[38:39], v[60:61], v[62:63]
	v_fma_f64 v[30:31], v[30:31], v[56:57], v[58:59]
	;; [unrolled: 1-line block ×3, first 2 shown]
	v_fma_f64 v[16:17], v[16:17], v[48:49], -v[179:180]
	v_fma_f64 v[44:45], v[44:45], v[48:49], v[50:51]
	v_fma_f64 v[48:49], v[130:131], v[76:77], -v[181:182]
	v_fma_f64 v[50:51], v[134:135], v[76:77], v[78:79]
	v_fma_f64 v[20:21], v[20:21], v[80:81], -v[183:184]
	v_fma_f64 v[4:5], v[4:5], v[84:85], -v[185:186]
	v_fma_f64 v[40:41], v[40:41], v[80:81], v[82:83]
	v_fma_f64 v[28:29], v[28:29], v[84:85], v[86:87]
	v_fma_f64 v[8:9], v[8:9], v[88:89], -v[187:188]
	v_fma_f64 v[12:13], v[12:13], v[92:93], -v[189:190]
	v_fma_f64 v[32:33], v[32:33], v[88:89], v[90:91]
	v_fma_f64 v[36:37], v[36:37], v[92:93], v[94:95]
	v_add_co_u32 v56, s1, v160, v165
	v_add_f64 v[52:53], v[2:3], -v[22:23]
	v_add_f64 v[60:61], v[26:27], v[42:43]
	v_add_f64 v[2:3], v[2:3], v[22:23]
	v_add_f64 v[54:55], v[10:11], -v[6:7]
	v_add_f64 v[58:59], v[18:19], -v[14:15]
	v_add_f64 v[62:63], v[46:47], v[38:39]
	v_add_f64 v[14:15], v[18:19], v[14:15]
	;; [unrolled: 1-line block ×4, first 2 shown]
	v_add_f64 v[10:11], v[26:27], -v[42:43]
	v_add_f64 v[18:19], v[34:35], -v[30:31]
	;; [unrolled: 1-line block ×5, first 2 shown]
	v_add_f64 v[38:39], v[44:45], v[50:51]
	v_add_f64 v[42:43], v[28:29], v[40:41]
	;; [unrolled: 1-line block ×4, first 2 shown]
	v_add_f64 v[30:31], v[12:13], -v[8:9]
	v_add_f64 v[46:47], v[36:37], v[32:33]
	v_add_f64 v[8:9], v[12:13], v[8:9]
	v_add_f64 v[12:13], v[44:45], -v[50:51]
	v_add_f64 v[20:21], v[36:37], -v[32:33]
	;; [unrolled: 1-line block ×3, first 2 shown]
	v_add_co_ci_u32_e64 v57, s1, v161, v166, s1
	v_add_f64 v[32:33], v[52:53], -v[54:55]
	v_add_f64 v[36:37], v[54:55], -v[58:59]
	v_add_f64 v[40:41], v[54:55], v[58:59]
	v_add_f64 v[44:45], v[60:61], v[62:63]
	;; [unrolled: 1-line block ×3, first 2 shown]
	v_add_f64 v[66:67], v[2:3], -v[6:7]
	v_add_f64 v[68:69], v[6:7], -v[14:15]
	;; [unrolled: 1-line block ×6, first 2 shown]
	v_add_f64 v[2:3], v[38:39], v[42:43]
	v_add_f64 v[72:73], v[18:19], -v[22:23]
	v_add_f64 v[74:75], v[16:17], v[4:5]
	v_add_f64 v[18:19], v[18:19], v[22:23]
	v_add_f64 v[58:59], v[58:59], -v[52:53]
	v_add_f64 v[22:23], v[22:23], -v[10:11]
	;; [unrolled: 1-line block ×10, first 2 shown]
	v_add_f64 v[44:45], v[64:65], v[44:45]
	v_add_f64 v[54:55], v[6:7], v[54:55]
	v_add_f64 v[6:7], v[20:21], -v[28:29]
	v_add_f64 v[62:63], v[26:27], -v[30:31]
	v_add_f64 v[30:31], v[30:31], v[34:35]
	v_add_f64 v[82:83], v[12:13], -v[20:21]
	v_add_f64 v[20:21], v[20:21], v[28:29]
	;; [unrolled: 2-line block ×4, first 2 shown]
	v_mul_f64 v[36:37], v[36:37], s[24:25]
	v_add_f64 v[40:41], v[52:53], v[40:41]
	v_mul_f64 v[50:51], v[50:51], s[12:13]
	v_mul_f64 v[52:53], v[48:49], s[26:27]
	;; [unrolled: 1-line block ×7, first 2 shown]
	v_add_f64 v[10:11], v[10:11], v[18:19]
	v_mul_f64 v[18:19], v[76:77], s[24:25]
	v_add_f64 v[2:3], v[24:25], v[44:45]
	v_add_f64 v[0:1], v[0:1], v[54:55]
	v_mul_f64 v[76:77], v[80:81], s[12:13]
	v_mul_f64 v[80:81], v[4:5], s[12:13]
	;; [unrolled: 1-line block ×3, first 2 shown]
	v_add_f64 v[26:27], v[26:27], v[30:31]
	v_mul_f64 v[30:31], v[78:79], s[26:27]
	v_mul_f64 v[24:25], v[42:43], s[26:27]
	v_add_f64 v[6:7], v[132:133], v[46:47]
	v_add_f64 v[12:13], v[12:13], v[20:21]
	;; [unrolled: 1-line block ×3, first 2 shown]
	v_mul_f64 v[20:21], v[34:35], s[16:17]
	v_mul_f64 v[88:89], v[28:29], s[16:17]
	v_fma_f64 v[48:49], v[48:49], s[26:27], v[50:51]
	v_fma_f64 v[52:53], v[60:61], s[18:19], -v[52:53]
	v_fma_f64 v[50:51], v[60:61], s[22:23], -v[50:51]
	;; [unrolled: 1-line block ×3, first 2 shown]
	v_fma_f64 v[32:33], v[32:33], s[6:7], v[36:37]
	v_fma_f64 v[68:69], v[70:71], s[20:21], -v[84:85]
	v_fma_f64 v[70:71], v[70:71], s[6:7], v[72:73]
	v_fma_f64 v[66:67], v[66:67], s[26:27], v[64:65]
	v_fma_f64 v[74:75], v[14:15], s[18:19], -v[74:75]
	v_fma_f64 v[44:45], v[44:45], s[10:11], v[2:3]
	v_fma_f64 v[54:55], v[54:55], s[10:11], v[0:1]
	v_fma_f64 v[36:37], v[58:59], s[16:17], -v[36:37]
	v_fma_f64 v[14:15], v[14:15], s[22:23], -v[64:65]
	;; [unrolled: 1-line block ×3, first 2 shown]
	v_fma_f64 v[58:59], v[62:63], s[6:7], v[18:19]
	v_fma_f64 v[64:65], v[78:79], s[26:27], v[76:77]
	;; [unrolled: 1-line block ×6, first 2 shown]
	v_fma_f64 v[20:21], v[62:63], s[20:21], -v[20:21]
	v_fma_f64 v[30:31], v[38:39], s[18:19], -v[30:31]
	;; [unrolled: 1-line block ×8, first 2 shown]
	v_fma_f64 v[32:33], v[40:41], s[4:5], v[32:33]
	v_fma_f64 v[62:63], v[10:11], s[4:5], v[70:71]
	;; [unrolled: 1-line block ×3, first 2 shown]
	v_add_f64 v[48:49], v[48:49], v[44:45]
	v_add_f64 v[66:67], v[66:67], v[54:55]
	v_fma_f64 v[68:69], v[10:11], s[4:5], v[68:69]
	v_add_f64 v[52:53], v[52:53], v[44:45]
	v_add_f64 v[70:71], v[74:75], v[54:55]
	v_fma_f64 v[36:37], v[40:41], s[4:5], v[36:37]
	v_fma_f64 v[40:41], v[10:11], s[4:5], v[22:23]
	v_add_f64 v[22:23], v[50:51], v[44:45]
	v_add_f64 v[44:45], v[14:15], v[54:55]
	v_fma_f64 v[54:55], v[26:27], s[4:5], v[58:59]
	;; [unrolled: 4-line block ×3, first 2 shown]
	v_add_f64 v[78:79], v[30:31], v[46:47]
	v_fma_f64 v[74:75], v[12:13], s[4:5], v[34:35]
	v_add_f64 v[82:83], v[24:25], v[8:9]
	v_fma_f64 v[72:73], v[26:27], s[4:5], v[18:19]
	v_fma_f64 v[76:77], v[12:13], s[4:5], v[28:29]
	v_add_f64 v[46:47], v[38:39], v[46:47]
	v_add_f64 v[84:85], v[16:17], v[8:9]
	v_add_co_u32 v86, s1, v160, v156
	v_add_f64 v[30:31], v[48:49], -v[32:33]
	v_add_f64 v[28:29], v[62:63], v[66:67]
	v_add_f64 v[26:27], v[52:53], -v[60:61]
	v_add_f64 v[24:25], v[68:69], v[70:71]
	v_add_f64 v[14:15], v[60:61], v[52:53]
	v_add_f64 v[12:13], v[70:71], -v[68:69]
	v_add_f64 v[18:19], v[22:23], -v[36:37]
	v_add_f64 v[22:23], v[36:37], v[22:23]
	v_add_f64 v[20:21], v[44:45], -v[40:41]
	v_add_f64 v[16:17], v[40:41], v[44:45]
	v_add_f64 v[10:11], v[32:33], v[48:49]
	v_add_f64 v[8:9], v[66:67], -v[62:63]
	v_add_f64 v[34:35], v[54:55], v[64:65]
	v_add_f64 v[54:55], v[64:65], -v[54:55]
	v_add_f64 v[52:53], v[58:59], v[80:81]
	v_add_f64 v[38:39], v[50:51], v[78:79]
	v_add_f64 v[50:51], v[78:79], -v[50:51]
	v_add_f64 v[48:49], v[74:75], v[82:83]
	v_add_f64 v[42:43], v[46:47], -v[72:73]
	;; [unrolled: 2-line block ×4, first 2 shown]
	v_add_f64 v[32:33], v[80:81], -v[58:59]
	v_add_co_ci_u32_e64 v87, s1, v161, v157, s1
	v_add_co_u32 v58, s1, v160, v154
	v_add_co_ci_u32_e64 v59, s1, v161, v155, s1
	v_add_co_u32 v60, s1, v160, v152
	v_add_co_ci_u32_e64 v61, s1, v161, v153, s1
	global_store_dwordx4 v[96:97], v[0:3], off
	global_store_dwordx4 v[98:99], v[28:31], off
	;; [unrolled: 1-line block ×14, first 2 shown]
	s_and_b32 exec_lo, exec_lo, vcc_lo
	s_cbranch_execz .LBB0_20
; %bb.19:
	v_subrev_nc_u32_e32 v0, 32, v158
	v_add_nc_u32_e32 v57, 0x100, v158
	v_add_nc_u32_e32 v59, 0x190, v158
	;; [unrolled: 1-line block ×4, first 2 shown]
	v_cndmask_b32_e64 v0, v0, v159, s0
	v_add_nc_u32_e32 v68, 0x340, v158
	v_add_nc_u32_e32 v69, 0x3d0, v158
	v_mad_u64_u32 v[36:37], null, s2, v66, 0
	v_mul_i32_i24_e32 v136, 6, v0
	v_mad_u64_u32 v[38:39], null, s2, v68, 0
	v_mad_u64_u32 v[40:41], null, s2, v69, 0
	v_lshlrev_b64 v[0:1], 4, v[136:137]
	v_add_co_u32 v0, vcc_lo, s8, v0
	v_add_co_ci_u32_e32 v1, vcc_lo, s9, v1, vcc_lo
	v_add_co_u32 v20, vcc_lo, 0x8e0, v0
	v_add_co_ci_u32_e32 v21, vcc_lo, 0, v1, vcc_lo
	;; [unrolled: 2-line block ×4, first 2 shown]
	s_clause 0x5
	global_load_dwordx4 v[0:3], v[12:13], off offset:224
	global_load_dwordx4 v[4:7], v[20:21], off offset:16
	;; [unrolled: 1-line block ×6, first 2 shown]
	s_waitcnt vmcnt(5)
	v_mul_f64 v[24:25], v[116:117], v[2:3]
	v_mul_f64 v[2:3], v[104:105], v[2:3]
	s_waitcnt vmcnt(4)
	v_mul_f64 v[26:27], v[120:121], v[6:7]
	v_mul_f64 v[6:7], v[108:109], v[6:7]
	;; [unrolled: 3-line block ×6, first 2 shown]
	v_fma_f64 v[24:25], v[104:105], v[0:1], -v[24:25]
	v_fma_f64 v[0:1], v[116:117], v[0:1], v[2:3]
	v_fma_f64 v[2:3], v[108:109], v[4:5], -v[26:27]
	v_fma_f64 v[4:5], v[120:121], v[4:5], v[6:7]
	;; [unrolled: 2-line block ×6, first 2 shown]
	v_mad_u64_u32 v[22:23], null, s2, v162, 0
	v_mad_u64_u32 v[34:35], null, s2, v57, 0
	v_add_f64 v[26:27], v[24:25], v[6:7]
	v_add_f64 v[28:29], v[0:1], v[8:9]
	;; [unrolled: 1-line block ×4, first 2 shown]
	v_add_f64 v[4:5], v[4:5], -v[12:13]
	v_add_f64 v[6:7], v[24:25], -v[6:7]
	;; [unrolled: 1-line block ×3, first 2 shown]
	v_add_f64 v[12:13], v[16:17], v[20:21]
	v_add_f64 v[10:11], v[14:15], v[18:19]
	v_add_f64 v[14:15], v[18:19], -v[14:15]
	v_add_f64 v[16:17], v[20:21], -v[16:17]
	;; [unrolled: 1-line block ×3, first 2 shown]
	v_mad_u64_u32 v[18:19], null, s2, v59, 0
	v_mad_u64_u32 v[20:21], null, s2, v61, 0
	;; [unrolled: 1-line block ×3, first 2 shown]
	v_add_f64 v[0:1], v[30:31], v[26:27]
	v_add_f64 v[24:25], v[32:33], v[28:29]
	v_add_f64 v[51:52], v[2:3], -v[6:7]
	v_add_f64 v[45:46], v[28:29], -v[12:13]
	;; [unrolled: 1-line block ×6, first 2 shown]
	v_add_f64 v[4:5], v[16:17], v[4:5]
	v_add_f64 v[16:17], v[8:9], -v[16:17]
	v_mov_b32_e32 v21, v61
	v_add_f64 v[55:56], v[10:11], v[0:1]
	v_mad_u64_u32 v[42:43], null, s3, v162, v[23:24]
	v_add_f64 v[24:25], v[12:13], v[24:25]
	v_add_f64 v[43:44], v[26:27], -v[10:11]
	v_add_f64 v[10:11], v[10:11], -v[30:31]
	;; [unrolled: 1-line block ×3, first 2 shown]
	v_mov_b32_e32 v23, v35
	v_mul_f64 v[45:46], v[45:46], s[26:27]
	v_mul_f64 v[47:48], v[47:48], s[24:25]
	;; [unrolled: 1-line block ×3, first 2 shown]
	v_add_f64 v[26:27], v[30:31], -v[26:27]
	v_mul_f64 v[30:31], v[51:52], s[16:17]
	v_mul_f64 v[62:63], v[53:54], s[16:17]
	v_add_f64 v[4:5], v[4:5], v[8:9]
	v_mov_b32_e32 v35, v37
	v_mov_b32_e32 v37, v39
	;; [unrolled: 1-line block ×3, first 2 shown]
	v_mad_u64_u32 v[66:67], null, s3, v66, v[35:36]
	v_add_f64 v[0:1], v[100:101], v[55:56]
	v_mad_u64_u32 v[67:68], null, s3, v68, v[37:38]
	v_mad_u64_u32 v[57:58], null, s3, v57, v[23:24]
	;; [unrolled: 1-line block ×3, first 2 shown]
	v_add_f64 v[59:60], v[14:15], v[2:3]
	v_add_f64 v[14:15], v[6:7], -v[14:15]
	v_mul_f64 v[43:44], v[43:44], s[26:27]
	v_add_f64 v[2:3], v[102:103], v[24:25]
	v_mul_f64 v[32:33], v[10:11], s[12:13]
	v_mul_f64 v[64:65], v[12:13], s[12:13]
	v_mov_b32_e32 v23, v42
	v_mov_b32_e32 v35, v57
	;; [unrolled: 1-line block ×3, first 2 shown]
	v_mad_u64_u32 v[68:69], null, s3, v69, v[39:40]
	v_lshlrev_b64 v[22:23], 4, v[22:23]
	v_mov_b32_e32 v37, v66
	v_mov_b32_e32 v39, v67
	v_lshlrev_b64 v[18:19], 4, v[18:19]
	v_mov_b32_e32 v41, v68
	v_add_f64 v[6:7], v[59:60], v[6:7]
	v_fma_f64 v[59:60], v[16:17], s[6:7], v[49:50]
	v_fma_f64 v[8:9], v[10:11], s[12:13], v[43:44]
	;; [unrolled: 1-line block ×4, first 2 shown]
	v_fma_f64 v[14:15], v[14:15], s[20:21], -v[30:31]
	v_fma_f64 v[30:31], v[55:56], s[10:11], v[0:1]
	v_fma_f64 v[24:25], v[24:25], s[10:11], v[2:3]
	v_fma_f64 v[16:17], v[16:17], s[20:21], -v[62:63]
	v_fma_f64 v[42:43], v[26:27], s[18:19], -v[43:44]
	;; [unrolled: 1-line block ×7, first 2 shown]
	v_lshlrev_b64 v[32:33], 4, v[34:35]
	v_fma_f64 v[51:52], v[4:5], s[4:5], v[59:60]
	v_fma_f64 v[34:35], v[6:7], s[4:5], v[12:13]
	;; [unrolled: 1-line block ×3, first 2 shown]
	v_add_f64 v[57:58], v[8:9], v[30:31]
	v_add_f64 v[59:60], v[10:11], v[24:25]
	v_fma_f64 v[55:56], v[4:5], s[4:5], v[16:17]
	v_add_f64 v[42:43], v[42:43], v[30:31]
	v_add_f64 v[44:45], v[44:45], v[24:25]
	v_fma_f64 v[46:47], v[6:7], s[4:5], v[47:48]
	v_fma_f64 v[48:49], v[4:5], s[4:5], v[49:50]
	v_add_f64 v[16:17], v[26:27], v[30:31]
	v_add_f64 v[24:25], v[28:29], v[24:25]
	v_lshlrev_b64 v[30:31], 4, v[36:37]
	v_lshlrev_b64 v[36:37], 4, v[38:39]
	v_lshlrev_b64 v[38:39], 4, v[40:41]
	v_add_co_u32 v40, vcc_lo, v160, v22
	v_add_co_ci_u32_e32 v41, vcc_lo, v161, v23, vcc_lo
	v_add_co_u32 v32, vcc_lo, v160, v32
	v_add_co_ci_u32_e32 v33, vcc_lo, v161, v33, vcc_lo
	v_add_co_u32 v61, vcc_lo, v160, v18
	v_add_f64 v[4:5], v[51:52], v[57:58]
	v_add_f64 v[6:7], v[59:60], -v[34:35]
	v_add_co_ci_u32_e32 v62, vcc_lo, v161, v19, vcc_lo
	v_add_f64 v[8:9], v[55:56], v[42:43]
	v_add_f64 v[10:11], v[44:45], -v[53:54]
	v_lshlrev_b64 v[28:29], 4, v[20:21]
	v_add_f64 v[12:13], v[16:17], -v[48:49]
	v_add_f64 v[14:15], v[46:47], v[24:25]
	v_add_f64 v[16:17], v[48:49], v[16:17]
	v_add_f64 v[18:19], v[24:25], -v[46:47]
	v_add_f64 v[20:21], v[42:43], -v[55:56]
	v_add_f64 v[22:23], v[53:54], v[44:45]
	v_add_f64 v[24:25], v[57:58], -v[51:52]
	v_add_f64 v[26:27], v[34:35], v[59:60]
	v_add_co_u32 v28, vcc_lo, v160, v28
	v_add_co_ci_u32_e32 v29, vcc_lo, v161, v29, vcc_lo
	v_add_co_u32 v30, vcc_lo, v160, v30
	v_add_co_ci_u32_e32 v31, vcc_lo, v161, v31, vcc_lo
	;; [unrolled: 2-line block ×4, first 2 shown]
	global_store_dwordx4 v[40:41], v[0:3], off
	global_store_dwordx4 v[32:33], v[4:7], off
	;; [unrolled: 1-line block ×7, first 2 shown]
.LBB0_20:
	s_endpgm
	.section	.rodata,"a",@progbits
	.p2align	6, 0x0
	.amdhsa_kernel fft_rtc_fwd_len1008_factors_2_2_2_2_3_3_7_wgs_56_tpt_56_halfLds_dp_op_CI_CI_sbrr_dirReg
		.amdhsa_group_segment_fixed_size 0
		.amdhsa_private_segment_fixed_size 0
		.amdhsa_kernarg_size 104
		.amdhsa_user_sgpr_count 6
		.amdhsa_user_sgpr_private_segment_buffer 1
		.amdhsa_user_sgpr_dispatch_ptr 0
		.amdhsa_user_sgpr_queue_ptr 0
		.amdhsa_user_sgpr_kernarg_segment_ptr 1
		.amdhsa_user_sgpr_dispatch_id 0
		.amdhsa_user_sgpr_flat_scratch_init 0
		.amdhsa_user_sgpr_private_segment_size 0
		.amdhsa_wavefront_size32 1
		.amdhsa_uses_dynamic_stack 0
		.amdhsa_system_sgpr_private_segment_wavefront_offset 0
		.amdhsa_system_sgpr_workgroup_id_x 1
		.amdhsa_system_sgpr_workgroup_id_y 0
		.amdhsa_system_sgpr_workgroup_id_z 0
		.amdhsa_system_sgpr_workgroup_info 0
		.amdhsa_system_vgpr_workitem_id 0
		.amdhsa_next_free_vgpr 191
		.amdhsa_next_free_sgpr 31
		.amdhsa_reserve_vcc 1
		.amdhsa_reserve_flat_scratch 0
		.amdhsa_float_round_mode_32 0
		.amdhsa_float_round_mode_16_64 0
		.amdhsa_float_denorm_mode_32 3
		.amdhsa_float_denorm_mode_16_64 3
		.amdhsa_dx10_clamp 1
		.amdhsa_ieee_mode 1
		.amdhsa_fp16_overflow 0
		.amdhsa_workgroup_processor_mode 1
		.amdhsa_memory_ordered 1
		.amdhsa_forward_progress 0
		.amdhsa_shared_vgpr_count 0
		.amdhsa_exception_fp_ieee_invalid_op 0
		.amdhsa_exception_fp_denorm_src 0
		.amdhsa_exception_fp_ieee_div_zero 0
		.amdhsa_exception_fp_ieee_overflow 0
		.amdhsa_exception_fp_ieee_underflow 0
		.amdhsa_exception_fp_ieee_inexact 0
		.amdhsa_exception_int_div_zero 0
	.end_amdhsa_kernel
	.text
.Lfunc_end0:
	.size	fft_rtc_fwd_len1008_factors_2_2_2_2_3_3_7_wgs_56_tpt_56_halfLds_dp_op_CI_CI_sbrr_dirReg, .Lfunc_end0-fft_rtc_fwd_len1008_factors_2_2_2_2_3_3_7_wgs_56_tpt_56_halfLds_dp_op_CI_CI_sbrr_dirReg
                                        ; -- End function
	.section	.AMDGPU.csdata,"",@progbits
; Kernel info:
; codeLenInByte = 15784
; NumSgprs: 33
; NumVgprs: 191
; ScratchSize: 0
; MemoryBound: 1
; FloatMode: 240
; IeeeMode: 1
; LDSByteSize: 0 bytes/workgroup (compile time only)
; SGPRBlocks: 4
; VGPRBlocks: 23
; NumSGPRsForWavesPerEU: 33
; NumVGPRsForWavesPerEU: 191
; Occupancy: 5
; WaveLimiterHint : 1
; COMPUTE_PGM_RSRC2:SCRATCH_EN: 0
; COMPUTE_PGM_RSRC2:USER_SGPR: 6
; COMPUTE_PGM_RSRC2:TRAP_HANDLER: 0
; COMPUTE_PGM_RSRC2:TGID_X_EN: 1
; COMPUTE_PGM_RSRC2:TGID_Y_EN: 0
; COMPUTE_PGM_RSRC2:TGID_Z_EN: 0
; COMPUTE_PGM_RSRC2:TIDIG_COMP_CNT: 0
	.text
	.p2alignl 6, 3214868480
	.fill 48, 4, 3214868480
	.type	__hip_cuid_aea43915da66e8cd,@object ; @__hip_cuid_aea43915da66e8cd
	.section	.bss,"aw",@nobits
	.globl	__hip_cuid_aea43915da66e8cd
__hip_cuid_aea43915da66e8cd:
	.byte	0                               ; 0x0
	.size	__hip_cuid_aea43915da66e8cd, 1

	.ident	"AMD clang version 19.0.0git (https://github.com/RadeonOpenCompute/llvm-project roc-6.4.0 25133 c7fe45cf4b819c5991fe208aaa96edf142730f1d)"
	.section	".note.GNU-stack","",@progbits
	.addrsig
	.addrsig_sym __hip_cuid_aea43915da66e8cd
	.amdgpu_metadata
---
amdhsa.kernels:
  - .args:
      - .actual_access:  read_only
        .address_space:  global
        .offset:         0
        .size:           8
        .value_kind:     global_buffer
      - .offset:         8
        .size:           8
        .value_kind:     by_value
      - .actual_access:  read_only
        .address_space:  global
        .offset:         16
        .size:           8
        .value_kind:     global_buffer
      - .actual_access:  read_only
        .address_space:  global
        .offset:         24
        .size:           8
        .value_kind:     global_buffer
      - .actual_access:  read_only
        .address_space:  global
        .offset:         32
        .size:           8
        .value_kind:     global_buffer
      - .offset:         40
        .size:           8
        .value_kind:     by_value
      - .actual_access:  read_only
        .address_space:  global
        .offset:         48
        .size:           8
        .value_kind:     global_buffer
      - .actual_access:  read_only
        .address_space:  global
        .offset:         56
        .size:           8
        .value_kind:     global_buffer
      - .offset:         64
        .size:           4
        .value_kind:     by_value
      - .actual_access:  read_only
        .address_space:  global
        .offset:         72
        .size:           8
        .value_kind:     global_buffer
      - .actual_access:  read_only
        .address_space:  global
        .offset:         80
        .size:           8
        .value_kind:     global_buffer
      - .actual_access:  read_only
        .address_space:  global
        .offset:         88
        .size:           8
        .value_kind:     global_buffer
      - .actual_access:  write_only
        .address_space:  global
        .offset:         96
        .size:           8
        .value_kind:     global_buffer
    .group_segment_fixed_size: 0
    .kernarg_segment_align: 8
    .kernarg_segment_size: 104
    .language:       OpenCL C
    .language_version:
      - 2
      - 0
    .max_flat_workgroup_size: 56
    .name:           fft_rtc_fwd_len1008_factors_2_2_2_2_3_3_7_wgs_56_tpt_56_halfLds_dp_op_CI_CI_sbrr_dirReg
    .private_segment_fixed_size: 0
    .sgpr_count:     33
    .sgpr_spill_count: 0
    .symbol:         fft_rtc_fwd_len1008_factors_2_2_2_2_3_3_7_wgs_56_tpt_56_halfLds_dp_op_CI_CI_sbrr_dirReg.kd
    .uniform_work_group_size: 1
    .uses_dynamic_stack: false
    .vgpr_count:     191
    .vgpr_spill_count: 0
    .wavefront_size: 32
    .workgroup_processor_mode: 1
amdhsa.target:   amdgcn-amd-amdhsa--gfx1030
amdhsa.version:
  - 1
  - 2
...

	.end_amdgpu_metadata
